;; amdgpu-corpus repo=ROCm/rocFFT kind=compiled arch=gfx950 opt=O3
	.text
	.amdgcn_target "amdgcn-amd-amdhsa--gfx950"
	.amdhsa_code_object_version 6
	.protected	bluestein_single_back_len156_dim1_sp_op_CI_CI ; -- Begin function bluestein_single_back_len156_dim1_sp_op_CI_CI
	.globl	bluestein_single_back_len156_dim1_sp_op_CI_CI
	.p2align	8
	.type	bluestein_single_back_len156_dim1_sp_op_CI_CI,@function
bluestein_single_back_len156_dim1_sp_op_CI_CI: ; @bluestein_single_back_len156_dim1_sp_op_CI_CI
; %bb.0:
	s_load_dwordx4 s[16:19], s[0:1], 0x28
	v_mul_u32_u24_e32 v1, 0x13b2, v0
	v_lshrrev_b32_e32 v2, 16, v1
	v_mad_u64_u32 v[68:69], s[2:3], s2, 9, v[2:3]
	v_mov_b32_e32 v93, 0
	v_mov_b32_e32 v69, v93
	s_waitcnt lgkmcnt(0)
	v_cmp_gt_u64_e32 vcc, s[16:17], v[68:69]
	s_and_saveexec_b64 s[2:3], vcc
	s_cbranch_execz .LBB0_12
; %bb.1:
	s_load_dwordx4 s[4:7], s[0:1], 0x18
	s_load_dwordx4 s[8:11], s[0:1], 0x0
	v_mul_lo_u16_e32 v1, 13, v2
	v_sub_u16_e32 v78, v0, v1
	v_mov_b32_e32 v4, s18
	s_waitcnt lgkmcnt(0)
	s_load_dwordx4 s[12:15], s[4:5], 0x0
	v_mov_b32_e32 v5, s19
	v_mov_b32_e32 v24, 0x1a0
	v_lshlrev_b32_e32 v92, 3, v78
	v_mov_b32_e32 v20, 0xfffffd28
	s_waitcnt lgkmcnt(0)
	v_mad_u64_u32 v[0:1], s[2:3], s14, v68, 0
	v_mov_b32_e32 v2, v1
	v_mad_u64_u32 v[2:3], s[2:3], s15, v68, v[2:3]
	v_mov_b32_e32 v1, v2
	;; [unrolled: 2-line block ×4, first 2 shown]
	v_lshl_add_u64 v[0:1], v[0:1], 3, v[4:5]
	v_lshl_add_u64 v[0:1], v[2:3], 3, v[0:1]
	global_load_dwordx2 v[2:3], v[0:1], off
	v_mad_u64_u32 v[0:1], s[2:3], s12, v24, v[0:1]
	s_mul_i32 s4, s13, 0x1a0
	v_add_u32_e32 v1, s4, v1
	v_mad_u64_u32 v[4:5], s[2:3], s12, v24, v[0:1]
	v_add_u32_e32 v5, s4, v5
	global_load_dwordx2 v[82:83], v92, s[8:9]
	global_load_dwordx2 v[80:81], v92, s[8:9] offset:416
	global_load_dwordx2 v[6:7], v[0:1], off
	global_load_dwordx2 v[8:9], v[4:5], off
	global_load_dwordx2 v[74:75], v92, s[8:9] offset:832
	v_mad_u64_u32 v[0:1], s[2:3], s12, v20, v[4:5]
	s_mul_i32 s2, s13, 0xfffffd28
	s_sub_i32 s5, s2, s12
	v_add_u32_e32 v1, s5, v1
	v_mad_u64_u32 v[4:5], s[2:3], s12, v24, v[0:1]
	v_add_u32_e32 v5, s4, v5
	global_load_dwordx2 v[76:77], v92, s[8:9] offset:104
	v_cmp_gt_u16_e32 vcc, 12, v78
	global_load_dwordx2 v[0:1], v[0:1], off
	s_nop 0
	global_load_dwordx2 v[10:11], v[4:5], off
	global_load_dwordx2 v[72:73], v92, s[8:9] offset:520
	v_mad_u64_u32 v[4:5], s[2:3], s12, v24, v[4:5]
	v_add_u32_e32 v5, s4, v5
	global_load_dwordx2 v[12:13], v[4:5], off
	global_load_dwordx2 v[70:71], v92, s[8:9] offset:936
	v_mad_u64_u32 v[4:5], s[2:3], s12, v20, v[4:5]
	v_add_u32_e32 v5, s5, v5
	;; [unrolled: 4-line block ×7, first 2 shown]
	global_load_dwordx2 v[56:57], v92, s[8:9] offset:1144
	global_load_dwordx2 v[24:25], v[4:5], off
	s_mov_b32 s3, 0x38e38e39
	v_mul_hi_u32 v4, v68, s3
	v_lshrrev_b32_e32 v4, 1, v4
	v_lshl_add_u32 v4, v4, 3, v4
	v_sub_u32_e32 v4, v68, v4
	v_mul_u32_u24_e32 v4, 0x9c, v4
	v_lshlrev_b32_e32 v158, 3, v4
	v_add_u32_e32 v69, v92, v158
	s_mov_b32 s2, 0
	s_load_dwordx4 s[4:7], s[6:7], 0x0
	v_mov_b32_e32 v79, s2
	v_lshl_add_u64 v[26:27], v[78:79], 0, 13
	v_lshl_add_u64 v[28:29], v[78:79], 0, 26
	s_mov_b32 s2, 0x3f5db3d7
	v_add_u32_e32 v27, 39, v78
	s_movk_i32 s12, 0xab
	s_waitcnt vmcnt(22)
	v_mul_f32_e32 v4, v3, v83
	v_mul_f32_e32 v5, v2, v83
	v_fmac_f32_e32 v4, v2, v82
	v_fma_f32 v5, v3, v82, -v5
	s_waitcnt vmcnt(20)
	v_mul_f32_e32 v2, v7, v81
	v_mul_f32_e32 v3, v6, v81
	v_fmac_f32_e32 v2, v6, v80
	v_fma_f32 v3, v7, v80, -v3
	ds_write_b64 v69, v[2:3] offset:416
	s_waitcnt vmcnt(18)
	v_mul_f32_e32 v2, v9, v75
	v_mul_f32_e32 v3, v8, v75
	v_fmac_f32_e32 v2, v8, v74
	v_fma_f32 v3, v9, v74, -v3
	ds_write_b64 v69, v[2:3] offset:832
	s_waitcnt vmcnt(16)
	v_mul_f32_e32 v2, v1, v77
	v_fmac_f32_e32 v2, v0, v76
	v_mul_f32_e32 v0, v0, v77
	v_fma_f32 v3, v1, v76, -v0
	s_waitcnt vmcnt(14)
	v_mul_f32_e32 v0, v11, v73
	v_mul_f32_e32 v1, v10, v73
	v_fmac_f32_e32 v0, v10, v72
	v_fma_f32 v1, v11, v72, -v1
	ds_write2_b64 v69, v[4:5], v[2:3] offset1:13
	s_waitcnt vmcnt(12)
	v_mul_f32_e32 v2, v13, v71
	v_mul_f32_e32 v3, v12, v71
	v_fmac_f32_e32 v2, v12, v70
	s_waitcnt vmcnt(8)
	v_mul_f32_e32 v6, v17, v65
	v_mul_f32_e32 v7, v16, v65
	v_fmac_f32_e32 v6, v16, v64
	v_fma_f32 v7, v17, v64, -v7
	ds_write2_b64 v69, v[0:1], v[6:7] offset0:65 offset1:78
	s_waitcnt vmcnt(6)
	v_mul_f32_e32 v0, v19, v63
	v_mul_f32_e32 v1, v18, v63
	v_fma_f32 v3, v13, v70, -v3
	v_fmac_f32_e32 v0, v18, v62
	v_fma_f32 v1, v19, v62, -v1
	v_mul_f32_e32 v4, v15, v67
	v_mul_f32_e32 v5, v14, v67
	ds_write2_b64 v69, v[2:3], v[0:1] offset0:117 offset1:130
	s_waitcnt vmcnt(4)
	v_mul_f32_e32 v0, v21, v61
	v_mul_f32_e32 v1, v20, v61
	v_fmac_f32_e32 v4, v14, v66
	v_fma_f32 v5, v15, v66, -v5
	v_fmac_f32_e32 v0, v20, v60
	v_fma_f32 v1, v21, v60, -v1
	ds_write2_b64 v69, v[4:5], v[0:1] offset0:26 offset1:39
	s_waitcnt vmcnt(2)
	v_mul_f32_e32 v0, v23, v59
	v_mul_f32_e32 v1, v22, v59
	v_fmac_f32_e32 v0, v22, v58
	v_fma_f32 v1, v23, v58, -v1
	ds_write_b64 v69, v[0:1] offset:728
	s_waitcnt vmcnt(0)
	v_mul_f32_e32 v0, v25, v57
	v_mul_f32_e32 v1, v24, v57
	v_fmac_f32_e32 v0, v24, v56
	v_fma_f32 v1, v25, v56, -v1
	ds_write_b64 v69, v[0:1] offset:1144
	s_waitcnt lgkmcnt(0)
	s_barrier
	ds_read2_b64 v[0:3], v69 offset1:13
	ds_read2_b64 v[4:7], v69 offset0:52 offset1:65
	ds_read2_b64 v[8:11], v69 offset0:104 offset1:117
	v_mul_lo_u16_e32 v12, 3, v78
	v_lshl_add_u32 v159, v12, 3, v158
	v_mul_u32_u24_e32 v12, 3, v26
	v_lshl_add_u32 v79, v12, 3, v158
	s_waitcnt lgkmcnt(1)
	v_pk_add_f32 v[12:13], v[2:3], v[6:7]
	v_pk_add_f32 v[30:31], v[0:1], v[4:5]
	s_waitcnt lgkmcnt(0)
	v_pk_add_f32 v[22:23], v[12:13], v[10:11]
	v_pk_add_f32 v[12:13], v[6:7], v[10:11]
	v_pk_add_f32 v[6:7], v[6:7], v[10:11] neg_lo:[0,1] neg_hi:[0,1]
	v_pk_fma_f32 v[2:3], v[12:13], 0.5, v[2:3] op_sel_hi:[1,0,1] neg_lo:[1,0,0] neg_hi:[1,0,0]
	ds_read2_b64 v[10:13], v69 offset0:26 offset1:39
	ds_read2_b64 v[14:17], v69 offset0:78 offset1:91
	;; [unrolled: 1-line block ×3, first 2 shown]
	v_pk_mul_f32 v[6:7], v[6:7], s[2:3] op_sel_hi:[1,0]
	v_pk_add_f32 v[32:33], v[4:5], v[8:9]
	v_pk_add_f32 v[4:5], v[4:5], v[8:9] neg_lo:[0,1] neg_hi:[0,1]
	v_pk_add_f32 v[24:25], v[2:3], v[6:7] op_sel:[0,1] op_sel_hi:[1,0]
	v_pk_add_f32 v[2:3], v[2:3], v[6:7] op_sel:[0,1] op_sel_hi:[1,0] neg_lo:[0,1] neg_hi:[0,1]
	v_mul_u32_u24_e32 v6, 3, v28
	v_pk_fma_f32 v[0:1], v[32:33], 0.5, v[0:1] op_sel_hi:[1,0,1] neg_lo:[1,0,0] neg_hi:[1,0,0]
	v_pk_mul_f32 v[4:5], v[4:5], s[2:3] op_sel_hi:[1,0]
	v_lshl_add_u32 v160, v6, 3, v158
	s_waitcnt lgkmcnt(1)
	v_pk_add_f32 v[6:7], v[10:11], v[14:15]
	s_waitcnt lgkmcnt(0)
	v_pk_add_f32 v[34:35], v[14:15], v[18:19]
	v_pk_add_f32 v[8:9], v[30:31], v[8:9]
	v_pk_add_f32 v[14:15], v[14:15], v[18:19] neg_lo:[0,1] neg_hi:[0,1]
	v_pk_add_f32 v[30:31], v[0:1], v[4:5] op_sel:[0,1] op_sel_hi:[1,0]
	v_pk_add_f32 v[0:1], v[0:1], v[4:5] op_sel:[0,1] op_sel_hi:[1,0] neg_lo:[0,1] neg_hi:[0,1]
	v_pk_fma_f32 v[10:11], v[34:35], 0.5, v[10:11] op_sel_hi:[1,0,1] neg_lo:[1,0,0] neg_hi:[1,0,0]
	v_pk_mul_f32 v[14:15], v[14:15], s[2:3] op_sel_hi:[1,0]
	v_mov_b32_e32 v5, v1
	v_mov_b32_e32 v1, v31
	v_pk_add_f32 v[6:7], v[6:7], v[18:19]
	v_pk_add_f32 v[18:19], v[10:11], v[14:15] op_sel:[0,1] op_sel_hi:[1,0]
	v_pk_add_f32 v[10:11], v[10:11], v[14:15] op_sel:[0,1] op_sel_hi:[1,0] neg_lo:[0,1] neg_hi:[0,1]
	s_barrier
	v_mov_b32_e32 v4, v30
	ds_write_b64 v159, v[0:1] offset:16
	v_mov_b32_e32 v0, v24
	v_mov_b32_e32 v1, v3
	ds_write2_b64 v159, v[8:9], v[4:5] offset1:1
	ds_write2_b64 v79, v[22:23], v[0:1] offset1:1
	v_mov_b32_e32 v3, v25
	v_mov_b32_e32 v0, v18
	v_mov_b32_e32 v1, v11
	ds_write_b64 v79, v[2:3] offset:16
	ds_write2_b64 v160, v[6:7], v[0:1] offset1:1
	v_pk_add_f32 v[0:1], v[16:17], v[20:21]
	v_pk_add_f32 v[2:3], v[16:17], v[20:21] neg_lo:[0,1] neg_hi:[0,1]
	v_pk_fma_f32 v[0:1], v[0:1], 0.5, v[12:13] op_sel_hi:[1,0,1] neg_lo:[1,0,0] neg_hi:[1,0,0]
	v_pk_mul_f32 v[2:3], v[2:3], s[2:3] op_sel_hi:[1,0]
	v_mul_u32_u24_e32 v14, 3, v27
	v_pk_add_f32 v[4:5], v[0:1], v[2:3] op_sel:[0,1] op_sel_hi:[1,0]
	v_pk_add_f32 v[0:1], v[0:1], v[2:3] op_sel:[0,1] op_sel_hi:[1,0] neg_lo:[0,1] neg_hi:[0,1]
	v_lshl_add_u32 v161, v14, 3, v158
	v_mov_b32_e32 v11, v19
	v_mov_b32_e32 v3, v1
	;; [unrolled: 1-line block ×3, first 2 shown]
	ds_write_b64 v160, v[10:11] offset:16
	ds_write_b64 v161, v[0:1] offset:16
	v_mul_lo_u16_sdwa v0, v78, s12 dst_sel:DWORD dst_unused:UNUSED_PAD src0_sel:BYTE_0 src1_sel:DWORD
	v_lshrrev_b16_e32 v49, 9, v0
	v_mul_lo_u16_e32 v0, 3, v49
	v_sub_u16_e32 v89, v78, v0
	v_mul_lo_u16_e32 v0, 24, v89
	v_and_b32_e32 v0, 0xf8, v0
	v_mov_b32_e32 v1, v93
	v_pk_add_f32 v[14:15], v[12:13], v[16:17]
	v_lshl_add_u64 v[12:13], s[10:11], 0, v[0:1]
	v_mul_lo_u16_sdwa v0, v28, s12 dst_sel:DWORD dst_unused:UNUSED_PAD src0_sel:BYTE_0 src1_sel:DWORD
	v_lshrrev_b16_e32 v100, 9, v0
	v_mul_lo_u16_e32 v0, 3, v100
	v_sub_u16_e32 v0, v28, v0
	v_pk_add_f32 v[14:15], v[14:15], v[20:21]
	v_mov_b32_e32 v2, v4
	v_and_b32_e32 v101, 0xff, v0
	ds_write2_b64 v161, v[14:15], v[2:3] offset1:1
	s_waitcnt lgkmcnt(0)
	s_barrier
	global_load_dwordx2 v[84:85], v[12:13], off offset:16
	v_mad_u64_u32 v[14:15], s[2:3], v101, 24, s[10:11]
	global_load_dwordx4 v[4:7], v[14:15], off
	v_mul_lo_u16_sdwa v0, v26, s12 dst_sel:DWORD dst_unused:UNUSED_PAD src0_sel:BYTE_0 src1_sel:DWORD
	v_lshrrev_b16_e32 v102, 9, v0
	v_mul_lo_u16_e32 v0, 3, v102
	v_sub_u16_e32 v103, v26, v0
	v_mul_lo_u16_e32 v0, 24, v103
	v_and_b32_e32 v0, 0xf8, v0
	v_lshl_add_u64 v[16:17], s[10:11], 0, v[0:1]
	global_load_dwordx4 v[0:3], v[16:17], off
	global_load_dwordx4 v[8:11], v[12:13], off
	global_load_dwordx2 v[90:91], v[14:15], off offset:16
	global_load_dwordx2 v[86:87], v[16:17], off offset:16
	ds_read2_b64 v[12:15], v69 offset0:104 offset1:117
	ds_read2_b64 v[16:19], v69 offset0:52 offset1:65
	s_load_dwordx2 s[2:3], s[0:1], 0x38
	v_cmp_lt_u16_e64 s[0:1], 11, v78
	s_waitcnt vmcnt(5) lgkmcnt(0)
	v_mul_f32_e32 v20, v15, v85
	v_fma_f32 v22, v14, v84, -v20
	v_mul_f32_e32 v23, v14, v85
	s_waitcnt vmcnt(4)
	v_mul_f32_e32 v14, v19, v5
	v_mul_f32_e32 v24, v18, v5
	v_fma_f32 v25, v18, v4, -v14
	v_fmac_f32_e32 v24, v19, v4
	ds_read2_b64 v[18:21], v69 offset0:78 offset1:91
	v_mul_f32_e32 v14, v13, v7
	v_mul_f32_e32 v26, v12, v7
	v_fma_f32 v27, v12, v6, -v14
	v_fmac_f32_e32 v26, v13, v6
	s_waitcnt vmcnt(3)
	v_pk_mul_f32 v[12:13], v[16:17], v[0:1] op_sel_hi:[1,0]
	v_fmac_f32_e32 v23, v15, v84
	v_pk_fma_f32 v[28:29], v[16:17], v[0:1], v[12:13] op_sel:[0,1,1] op_sel_hi:[1,1,0]
	v_pk_fma_f32 v[30:31], v[16:17], v[0:1], v[12:13] op_sel:[0,1,1] op_sel_hi:[1,1,0] neg_lo:[1,0,0] neg_hi:[1,0,0]
	s_waitcnt vmcnt(2) lgkmcnt(0)
	v_mul_f32_e32 v12, v19, v11
	v_fma_f32 v32, v18, v10, -v12
	ds_read2_b64 v[12:15], v69 offset0:130 offset1:143
	v_mov_b32_e32 v88, v3
	v_pk_mul_f32 v[16:17], v[20:21], v[88:89] op_sel_hi:[1,0]
	v_mul_f32_e32 v33, v18, v11
	v_pk_fma_f32 v[34:35], v[20:21], v[2:3], v[16:17] op_sel:[0,0,1] op_sel_hi:[1,1,0] neg_lo:[0,0,1] neg_hi:[0,0,1]
	v_pk_fma_f32 v[36:37], v[20:21], v[2:3], v[16:17] op_sel:[0,0,1] op_sel_hi:[1,0,0]
	s_waitcnt vmcnt(1) lgkmcnt(0)
	v_mul_f32_e32 v3, v15, v91
	v_mul_f32_e32 v44, v14, v91
	v_fma_f32 v3, v14, v90, -v3
	v_fmac_f32_e32 v44, v15, v90
	ds_read2_b64 v[14:17], v69 offset0:26 offset1:39
	v_fmac_f32_e32 v33, v19, v10
	s_waitcnt vmcnt(0)
	v_pk_mul_f32 v[18:19], v[12:13], v[86:87] op_sel_hi:[1,0]
	v_mov_b32_e32 v20, v87
	v_pk_fma_f32 v[46:47], v[12:13], v[20:21], v[18:19] op_sel:[0,0,1] op_sel_hi:[1,1,0]
	v_pk_fma_f32 v[12:13], v[12:13], v[86:87], v[18:19] op_sel:[0,1,1] op_sel_hi:[1,1,0] neg_lo:[1,0,0] neg_hi:[1,0,0]
	ds_read2_b64 v[18:21], v69 offset1:13
	s_waitcnt lgkmcnt(1)
	v_mul_f32_e32 v12, v17, v9
	v_mul_f32_e32 v39, v16, v9
	v_fma_f32 v38, v16, v8, -v12
	v_fmac_f32_e32 v39, v17, v8
	v_pk_add_f32 v[22:23], v[38:39], v[22:23] neg_lo:[0,1] neg_hi:[0,1]
	s_waitcnt lgkmcnt(0)
	v_pk_add_f32 v[16:17], v[18:19], v[32:33] neg_lo:[0,1] neg_hi:[0,1]
	v_mov_b32_e32 v12, v23
	v_pk_fma_f32 v[32:33], v[38:39], 2.0, v[22:23] op_sel_hi:[1,0,1] neg_lo:[0,0,1] neg_hi:[0,0,1]
	v_pk_fma_f32 v[18:19], v[18:19], 2.0, v[16:17] op_sel_hi:[1,0,1] neg_lo:[0,0,1] neg_hi:[0,0,1]
	v_pk_add_f32 v[42:43], v[16:17], v[12:13] neg_lo:[0,1] neg_hi:[0,1]
	v_mov_b32_e32 v47, v13
	v_sub_f32_e32 v27, v14, v27
	v_add_f32_e32 v13, v14, v14
	v_mov_b32_e32 v12, v15
	v_pk_add_f32 v[40:41], v[18:19], v[32:33] neg_lo:[0,1] neg_hi:[0,1]
	v_pk_add_f32 v[32:33], v[12:13], v[26:27] neg_lo:[0,1] neg_hi:[0,1]
	v_sub_f32_e32 v45, v25, v3
	v_fma_f32 v12, v15, 2.0, -v32
	v_mov_b32_e32 v15, v22
	v_mov_b32_e32 v14, v45
	;; [unrolled: 1-line block ×4, first 2 shown]
	v_add_f32_e32 v25, v25, v25
	v_pk_add_f32 v[94:95], v[22:23], v[14:15]
	v_mov_b32_e32 v29, v31
	v_pk_add_f32 v[22:23], v[24:25], v[44:45] neg_lo:[0,1] neg_hi:[0,1]
	v_add_f32_e32 v13, v27, v27
	v_mov_b32_e32 v26, v27
	v_mov_b32_e32 v27, v33
	;; [unrolled: 1-line block ×3, first 2 shown]
	v_pk_fma_f32 v[36:37], v[18:19], 2.0, v[40:41] op_sel_hi:[1,0,1] neg_lo:[0,0,1] neg_hi:[0,0,1]
	v_pk_add_f32 v[18:19], v[28:29], v[46:47] neg_lo:[0,1] neg_hi:[0,1]
	v_pk_add_f32 v[46:47], v[26:27], v[22:23] neg_lo:[0,1] neg_hi:[0,1]
	v_mov_b32_e32 v43, v95
	v_pk_add_f32 v[14:15], v[20:21], v[34:35] neg_lo:[0,1] neg_hi:[0,1]
	v_fma_f32 v24, v24, 2.0, -v22
	v_mov_b32_e32 v25, v46
	v_pk_fma_f32 v[38:39], v[16:17], 2.0, v[42:43] op_sel_hi:[1,0,1] neg_lo:[0,0,1] neg_hi:[0,0,1]
	v_pk_fma_f32 v[16:17], v[20:21], 2.0, v[14:15] op_sel_hi:[1,0,1] neg_lo:[0,0,1] neg_hi:[0,0,1]
	v_pk_add_f32 v[44:45], v[12:13], v[24:25] neg_lo:[0,1] neg_hi:[0,1]
	v_fma_f32 v21, v31, 2.0, -v19
	v_add_f32_e32 v12, v12, v12
	v_mov_b32_e32 v20, v44
	v_mov_b32_e32 v13, v16
	v_fma_f32 v3, v28, 2.0, -v18
	v_pk_add_f32 v[96:97], v[12:13], v[20:21] neg_lo:[0,1] neg_hi:[0,1]
	v_pk_add_f32 v[12:13], v[14:15], v[18:19]
	v_sub_f32_e32 v48, v17, v3
	v_mul_lo_u16_e32 v3, 12, v49
	v_or_b32_e32 v3, v3, v89
	v_mul_lo_u16_e32 v12, 12, v102
	v_pk_add_f32 v[50:51], v[14:15], v[18:19] neg_lo:[0,1] neg_hi:[0,1]
	v_or_b32_e32 v12, v12, v103
	v_and_b32_e32 v3, 0xff, v3
	v_mov_b32_e32 v51, v13
	v_lshl_add_u32 v162, v3, 3, v158
	v_and_b32_e32 v3, 0xff, v12
	v_pk_fma_f32 v[54:55], v[14:15], 2.0, v[50:51] op_sel_hi:[1,0,1] neg_lo:[0,0,1] neg_hi:[0,0,1]
	v_mov_b32_e32 v14, v94
	v_mov_b32_e32 v15, v47
	v_lshl_add_u32 v163, v3, 3, v158
	v_mul_u32_u24_e32 v3, 12, v100
	v_mov_b32_e32 v18, v97
	v_mov_b32_e32 v19, v48
	v_pk_fma_f32 v[98:99], v[32:33], 2.0, v[14:15] op_sel_hi:[1,0,1] neg_lo:[0,0,1] neg_hi:[0,0,1]
	v_or_b32_e32 v3, v3, v101
	v_pk_fma_f32 v[52:53], v[16:17], 2.0, v[18:19] op_sel_hi:[1,0,1] neg_lo:[0,0,1] neg_hi:[0,0,1]
	v_lshl_add_u32 v164, v3, 3, v158
	v_mov_b32_e32 v14, v99
	v_mov_b32_e32 v15, v96
	;; [unrolled: 1-line block ×4, first 2 shown]
	s_barrier
	ds_write2_b64 v162, v[36:37], v[38:39] offset1:3
	ds_write2_b64 v162, v[40:41], v[42:43] offset0:6 offset1:9
	ds_write2_b64 v163, v[18:19], v[50:51] offset0:6 offset1:9
	ds_write2_b64 v163, v[52:53], v[54:55] offset1:3
	ds_write2_b64 v164, v[14:15], v[16:17] offset1:3
	v_mov_b32_e32 v14, v47
	v_mov_b32_e32 v15, v44
	;; [unrolled: 1-line block ×4, first 2 shown]
	ds_write2_b64 v164, v[14:15], v[16:17] offset0:6 offset1:9
	s_waitcnt lgkmcnt(0)
	s_barrier
	s_waitcnt lgkmcnt(0)
                                        ; implicit-def: $vgpr100
	s_and_saveexec_b64 s[12:13], s[0:1]
	s_xor_b64 s[12:13], exec, s[12:13]
; %bb.2:
	v_mov_b32_e32 v100, v13
; %bb.3:
	s_or_saveexec_b64 s[12:13], s[12:13]
                                        ; implicit-def: $vgpr102
                                        ; implicit-def: $vgpr104
	s_xor_b64 exec, exec, s[12:13]
	s_cbranch_execz .LBB0_5
; %bb.4:
	ds_read2_b64 v[36:39], v69 offset1:12
	ds_read2_b64 v[40:43], v69 offset0:24 offset1:36
	ds_read2_b64 v[44:47], v69 offset0:120 offset1:132
	;; [unrolled: 1-line block ×5, first 2 shown]
	ds_read_b64 v[102:103], v69 offset:1152
	s_waitcnt lgkmcnt(4)
	v_mov_b32_e32 v94, v47
	v_mov_b32_e32 v95, v43
	v_mov_b32_e32 v47, v44
	v_mov_b32_e32 v44, v45
	s_waitcnt lgkmcnt(1)
	v_mov_b32_e32 v45, v14
	v_mov_b32_e32 v98, v15
	;; [unrolled: 1-line block ×7, first 2 shown]
	s_waitcnt lgkmcnt(0)
	v_mov_b32_e32 v104, v103
.LBB0_5:
	s_or_b64 exec, exec, s[12:13]
	v_add_u32_e32 v3, -12, v78
	v_cndmask_b32_e32 v3, v3, v78, vcc
	v_mul_hi_i32_i24_e32 v13, 0x60, v3
	v_mul_i32_i24_e32 v12, 0x60, v3
	v_lshl_add_u64 v[106:107], s[10:11], 0, v[12:13]
	global_load_dwordx4 v[32:35], v[106:107], off offset:72
	global_load_dwordx4 v[20:23], v[106:107], off offset:88
	;; [unrolled: 1-line block ×6, first 2 shown]
	s_mov_b32 s22, 0xbeedf032
	s_mov_b32 s12, 0x3f62ad3f
	;; [unrolled: 1-line block ×12, first 2 shown]
	v_mov_b32_e32 v3, v2
	v_mov_b32_e32 v89, v88
	s_waitcnt vmcnt(5)
	v_pk_mul_f32 v[108:109], v[38:39], v[32:33] op_sel:[1,1] op_sel_hi:[1,0]
	s_waitcnt vmcnt(4)
	v_pk_mul_f32 v[110:111], v[94:95], v[20:21] op_sel:[1,1] op_sel_hi:[1,0]
	s_waitcnt vmcnt(3)
	v_pk_mul_f32 v[114:115], v[54:55], v[12:13] op_sel:[1,0]
	s_waitcnt vmcnt(2)
	v_pk_mul_f32 v[122:123], v[96:97], v[18:19] op_sel_hi:[0,1]
	s_waitcnt vmcnt(1)
	v_pk_mul_f32 v[124:125], v[98:99], v[24:25] op_sel_hi:[0,1]
	v_pk_mul_f32 v[126:127], v[44:45], v[26:27] op_sel_hi:[0,1]
	s_waitcnt vmcnt(0)
	v_pk_mul_f32 v[94:95], v[94:95], v[28:29] op_sel_hi:[0,1]
	v_pk_mul_f32 v[128:129], v[104:105], v[30:31] op_sel_hi:[0,1]
	v_pk_mul_f32 v[106:107], v[40:41], v[34:35] op_sel:[1,0]
	v_pk_fma_f32 v[104:105], v[42:43], v[20:21], v[110:111] neg_lo:[0,0,1] neg_hi:[0,0,1]
	v_pk_fma_f32 v[42:43], v[42:43], v[20:21], v[110:111] op_sel_hi:[0,1,1]
	v_pk_fma_f32 v[110:111], v[54:55], v[12:13], v[114:115] op_sel:[0,0,1] op_sel_hi:[1,1,0] neg_lo:[0,0,1] neg_hi:[0,0,1]
	v_pk_fma_f32 v[54:55], v[54:55], v[12:13], v[114:115] op_sel:[0,0,1] op_sel_hi:[0,1,0]
	v_pk_fma_f32 v[120:121], v[38:39], v[32:33], v[108:109] neg_lo:[0,0,1] neg_hi:[0,0,1]
	v_pk_fma_f32 v[38:39], v[38:39], v[32:33], v[108:109] op_sel_hi:[0,1,1]
	v_pk_fma_f32 v[118:119], v[98:99], v[18:19], v[122:123] op_sel:[1,0,1] op_sel_hi:[1,1,0] neg_lo:[0,0,1] neg_hi:[0,0,1]
	v_pk_fma_f32 v[108:109], v[98:99], v[18:19], v[122:123] op_sel:[1,0,1] op_sel_hi:[1,1,0]
	v_pk_fma_f32 v[98:99], v[44:45], v[24:25], v[124:125] op_sel:[1,0,1] op_sel_hi:[1,1,0] neg_lo:[0,0,1] neg_hi:[0,0,1]
	v_pk_fma_f32 v[44:45], v[44:45], v[24:25], v[124:125] op_sel:[1,0,1] op_sel_hi:[1,1,0]
	;; [unrolled: 2-line block ×5, first 2 shown]
	v_pk_mul_f32 v[112:113], v[52:53], v[22:23] op_sel:[1,0]
	v_pk_mul_f32 v[48:49], v[48:49], v[14:15] op_sel_hi:[0,1]
	v_pk_mul_f32 v[116:117], v[100:101], v[16:17] op_sel_hi:[0,1]
	v_pk_fma_f32 v[100:101], v[40:41], v[34:35], v[106:107] op_sel:[0,0,1] op_sel_hi:[1,1,0] neg_lo:[0,0,1] neg_hi:[0,0,1]
	v_pk_fma_f32 v[40:41], v[40:41], v[34:35], v[106:107] op_sel:[0,0,1] op_sel_hi:[0,1,0]
	v_mov_b32_e32 v121, v39
	v_mov_b32_e32 v127, v95
	v_pk_fma_f32 v[106:107], v[52:53], v[22:23], v[112:113] op_sel:[0,0,1] op_sel_hi:[1,1,0] neg_lo:[0,0,1] neg_hi:[0,0,1]
	v_pk_fma_f32 v[52:53], v[52:53], v[22:23], v[112:113] op_sel:[0,0,1] op_sel_hi:[0,1,0]
	v_pk_fma_f32 v[112:113], v[96:97], v[14:15], v[48:49] op_sel:[1,0,1] op_sel_hi:[1,1,0] neg_lo:[0,0,1] neg_hi:[0,0,1]
	v_pk_fma_f32 v[48:49], v[96:97], v[14:15], v[48:49] op_sel:[1,0,1] op_sel_hi:[1,1,0]
	;; [unrolled: 2-line block ×3, first 2 shown]
	v_mov_b32_e32 v101, v41
	v_mov_b32_e32 v125, v47
	v_pk_add_f32 v[102:103], v[120:121], v[126:127] neg_lo:[0,1] neg_hi:[0,1]
	v_mov_b32_e32 v105, v43
	v_mov_b32_e32 v97, v51
	;; [unrolled: 1-line block ×4, first 2 shown]
	v_pk_add_f32 v[50:51], v[120:121], v[126:127]
	v_pk_add_f32 v[108:109], v[100:101], v[124:125] neg_lo:[0,1] neg_hi:[0,1]
	v_pk_mul_f32 v[38:39], v[102:103], s[22:23] op_sel:[1,0] op_sel_hi:[0,0]
	v_mov_b32_e32 v107, v53
	v_mov_b32_e32 v99, v45
	v_pk_add_f32 v[46:47], v[100:101], v[124:125]
	v_pk_add_f32 v[114:115], v[104:105], v[122:123] neg_lo:[0,1] neg_hi:[0,1]
	v_pk_mul_f32 v[40:41], v[108:109], s[24:25] op_sel:[1,0] op_sel_hi:[0,0]
	v_pk_fma_f32 v[136:137], v[50:51], s[12:13], v[38:39] op_sel_hi:[1,0,1]
	v_pk_fma_f32 v[138:139], v[50:51], s[12:13], v[38:39] op_sel_hi:[1,0,1] neg_lo:[0,0,1] neg_hi:[0,0,1]
	v_pk_add_f32 v[44:45], v[104:105], v[122:123]
	v_pk_add_f32 v[144:145], v[106:107], v[98:99] neg_lo:[0,1] neg_hi:[0,1]
	v_pk_mul_f32 v[42:43], v[114:115], s[16:17] op_sel:[1,0] op_sel_hi:[0,0]
	v_pk_fma_f32 v[132:133], v[46:47], s[10:11], v[40:41] op_sel_hi:[1,0,1]
	v_pk_fma_f32 v[134:135], v[46:47], s[10:11], v[40:41] op_sel_hi:[1,0,1] neg_lo:[0,0,1] neg_hi:[0,0,1]
	v_mov_b32_e32 v38, v136
	v_mov_b32_e32 v39, v139
	;; [unrolled: 1-line block ×3, first 2 shown]
	v_pk_add_f32 v[52:53], v[106:107], v[98:99]
	v_pk_mul_f32 v[48:49], v[144:145], s[20:21] op_sel:[1,0] op_sel_hi:[0,0]
	v_pk_fma_f32 v[128:129], v[44:45], s[14:15], v[42:43] op_sel_hi:[1,0,1]
	v_pk_fma_f32 v[130:131], v[44:45], s[14:15], v[42:43] op_sel_hi:[1,0,1] neg_lo:[0,0,1] neg_hi:[0,0,1]
	v_mov_b32_e32 v40, v132
	v_mov_b32_e32 v41, v135
	v_pk_add_f32 v[38:39], v[36:37], v[38:39]
	v_mov_b32_e32 v111, v55
	v_mov_b32_e32 v42, v128
	;; [unrolled: 1-line block ×3, first 2 shown]
	v_pk_add_f32 v[38:39], v[40:41], v[38:39]
	v_pk_fma_f32 v[140:141], v[52:53], s[18:19], v[48:49] op_sel_hi:[1,0,1]
	v_pk_fma_f32 v[142:143], v[52:53], s[18:19], v[48:49] op_sel_hi:[1,0,1] neg_lo:[0,0,1] neg_hi:[0,0,1]
	v_pk_add_f32 v[38:39], v[42:43], v[38:39]
	v_mov_b32_e32 v40, v140
	v_mov_b32_e32 v41, v143
	v_pk_add_f32 v[154:155], v[110:111], v[118:119] neg_lo:[0,1] neg_hi:[0,1]
	v_pk_add_f32 v[38:39], v[40:41], v[38:39]
	v_pk_add_f32 v[54:55], v[110:111], v[118:119]
	v_pk_mul_f32 v[40:41], v[154:155], s[30:31] op_sel:[1,0] op_sel_hi:[0,0]
	v_pk_fma_f32 v[146:147], v[54:55], s[28:29], v[40:41] op_sel_hi:[1,0,1]
	v_pk_fma_f32 v[148:149], v[54:55], s[28:29], v[40:41] op_sel_hi:[1,0,1] neg_lo:[0,0,1] neg_hi:[0,0,1]
	v_mov_b32_e32 v40, v146
	v_mov_b32_e32 v41, v149
	v_pk_add_f32 v[156:157], v[112:113], v[96:97] neg_lo:[0,1] neg_hi:[0,1]
	v_pk_add_f32 v[38:39], v[40:41], v[38:39]
	v_pk_add_f32 v[94:95], v[112:113], v[96:97]
	v_pk_mul_f32 v[40:41], v[156:157], s[34:35] op_sel:[1,0] op_sel_hi:[0,0]
	v_pk_fma_f32 v[150:151], v[94:95], s[26:27], v[40:41] op_sel_hi:[1,0,1]
	v_pk_fma_f32 v[152:153], v[94:95], s[26:27], v[40:41] op_sel_hi:[1,0,1] neg_lo:[0,0,1] neg_hi:[0,0,1]
	v_mov_b32_e32 v40, v150
	v_mov_b32_e32 v41, v153
	v_pk_add_f32 v[48:49], v[40:41], v[38:39]
	v_lshl_add_u64 v[38:39], s[8:9], 0, v[92:93]
	v_mov_b32_e32 v42, v0
	v_mov_b32_e32 v43, v0
	;; [unrolled: 1-line block ×6, first 2 shown]
	s_and_saveexec_b64 s[22:23], vcc
	s_cbranch_execz .LBB0_7
; %bb.6:
	v_pk_add_f32 v[92:93], v[36:37], v[120:121]
	v_mov_b32_e32 v139, v137
	v_pk_add_f32 v[92:93], v[92:93], v[100:101]
	v_mov_b32_e32 v135, v133
	;; [unrolled: 2-line block ×8, first 2 shown]
	v_pk_add_f32 v[92:93], v[92:93], v[98:99]
	v_pk_mul_f32 v[96:97], v[166:167], s[24:25] op_sel_hi:[1,0]
	v_pk_add_f32 v[92:93], v[92:93], v[122:123]
	v_mov_b32_e32 v168, v109
	v_pk_add_f32 v[92:93], v[92:93], v[124:125]
	v_mov_b32_e32 v169, v108
	v_pk_add_f32 v[92:93], v[92:93], v[126:127]
	ds_write_b64 v69, v[92:93]
	v_pk_add_f32 v[92:93], v[36:37], v[138:139]
	v_pk_mul_f32 v[100:101], v[168:169], s[20:21] op_sel_hi:[1,0]
	v_pk_add_f32 v[92:93], v[134:135], v[92:93]
	v_mov_b32_e32 v116, v115
	v_pk_add_f32 v[92:93], v[130:131], v[92:93]
	v_mov_b32_e32 v117, v114
	;; [unrolled: 2-line block ×4, first 2 shown]
	v_pk_add_f32 v[118:119], v[152:153], v[92:93]
	v_pk_fma_f32 v[92:93], v[50:51], s[10:11], v[96:97] op_sel_hi:[1,0,1] neg_lo:[0,0,1] neg_hi:[0,0,1]
	v_pk_fma_f32 v[96:97], v[50:51], s[10:11], v[96:97] op_sel_hi:[1,0,1]
	v_mov_b32_e32 v98, v92
	v_mov_b32_e32 v99, v97
	v_pk_add_f32 v[104:105], v[36:37], v[98:99]
	v_pk_fma_f32 v[98:99], v[46:47], s[18:19], v[100:101] op_sel_hi:[1,0,1] neg_lo:[0,0,1] neg_hi:[0,0,1]
	v_pk_fma_f32 v[100:101], v[46:47], s[18:19], v[100:101] op_sel_hi:[1,0,1]
	v_mov_b32_e32 v106, v98
	v_mov_b32_e32 v107, v101
	v_pk_add_f32 v[110:111], v[106:107], v[104:105]
	v_pk_mul_f32 v[106:107], v[116:117], s[34:35] op_sel_hi:[1,0]
	s_mov_b32 s36, 0x3f29c268
	v_pk_fma_f32 v[104:105], v[44:45], s[26:27], v[106:107] op_sel_hi:[1,0,1] neg_lo:[0,0,1] neg_hi:[0,0,1]
	v_pk_fma_f32 v[106:107], v[44:45], s[26:27], v[106:107] op_sel_hi:[1,0,1]
	v_mov_b32_e32 v112, v104
	v_mov_b32_e32 v113, v107
	v_pk_add_f32 v[120:121], v[112:113], v[110:111]
	v_pk_mul_f32 v[112:113], v[114:115], s[36:37] op_sel_hi:[1,0]
	v_mov_b32_e32 v108, v155
	v_pk_fma_f32 v[110:111], v[52:53], s[28:29], v[112:113] op_sel_hi:[1,0,1] neg_lo:[0,0,1] neg_hi:[0,0,1]
	v_pk_fma_f32 v[112:113], v[52:53], s[28:29], v[112:113] op_sel_hi:[1,0,1]
	v_mov_b32_e32 v109, v154
	v_mov_b32_e32 v122, v110
	;; [unrolled: 1-line block ×3, first 2 shown]
	s_mov_b32 s40, 0x3f7e222b
	v_pk_add_f32 v[120:121], v[122:123], v[120:121]
	v_pk_mul_f32 v[122:123], v[108:109], s[40:41] op_sel_hi:[1,0]
	v_mov_b32_e32 v102, v157
	v_pk_fma_f32 v[124:125], v[54:55], s[14:15], v[122:123] op_sel_hi:[1,0,1] neg_lo:[0,0,1] neg_hi:[0,0,1]
	v_pk_fma_f32 v[122:123], v[54:55], s[14:15], v[122:123] op_sel_hi:[1,0,1]
	v_mov_b32_e32 v103, v156
	v_mov_b32_e32 v126, v124
	;; [unrolled: 1-line block ×3, first 2 shown]
	s_mov_b32 s38, 0x3eedf032
	v_pk_add_f32 v[120:121], v[126:127], v[120:121]
	v_pk_mul_f32 v[126:127], v[102:103], s[38:39] op_sel_hi:[1,0]
	v_lshl_add_u32 v165, v78, 3, v158
	v_pk_fma_f32 v[128:129], v[94:95], s[12:13], v[126:127] op_sel_hi:[1,0,1] neg_lo:[0,0,1] neg_hi:[0,0,1]
	v_pk_fma_f32 v[126:127], v[94:95], s[12:13], v[126:127] op_sel_hi:[1,0,1]
	v_mov_b32_e32 v130, v128
	v_mov_b32_e32 v131, v127
	v_pk_add_f32 v[120:121], v[130:131], v[120:121]
	ds_write2_b64 v165, v[118:119], v[120:121] offset0:12 offset1:24
	v_pk_mul_f32 v[118:119], v[166:167], s[16:17] op_sel_hi:[1,0]
	v_pk_mul_f32 v[120:121], v[168:169], s[34:35] op_sel_hi:[1,0]
	v_pk_fma_f32 v[138:139], v[50:51], s[14:15], v[118:119] op_sel_hi:[1,0,1] neg_lo:[0,0,1] neg_hi:[0,0,1]
	v_pk_fma_f32 v[118:119], v[50:51], s[14:15], v[118:119] op_sel_hi:[1,0,1]
	s_mov_b32 s42, 0x3f6f5d39
	v_mov_b32_e32 v140, v138
	v_mov_b32_e32 v141, v119
	v_pk_fma_f32 v[142:143], v[46:47], s[26:27], v[120:121] op_sel_hi:[1,0,1] neg_lo:[0,0,1] neg_hi:[0,0,1]
	v_pk_fma_f32 v[120:121], v[46:47], s[26:27], v[120:121] op_sel_hi:[1,0,1]
	v_pk_mul_f32 v[130:131], v[116:117], s[42:43] op_sel_hi:[1,0]
	v_pk_add_f32 v[140:141], v[36:37], v[140:141]
	v_mov_b32_e32 v144, v142
	v_mov_b32_e32 v145, v121
	v_pk_add_f32 v[140:141], v[144:145], v[140:141]
	v_pk_fma_f32 v[144:145], v[44:45], s[18:19], v[130:131] op_sel_hi:[1,0,1] neg_lo:[0,0,1] neg_hi:[0,0,1]
	v_pk_fma_f32 v[130:131], v[44:45], s[18:19], v[130:131] op_sel_hi:[1,0,1]
	v_pk_mul_f32 v[132:133], v[114:115], s[38:39] op_sel_hi:[1,0]
	v_mov_b32_e32 v146, v144
	v_mov_b32_e32 v147, v131
	v_pk_add_f32 v[140:141], v[146:147], v[140:141]
	v_pk_fma_f32 v[146:147], v[52:53], s[12:13], v[132:133] op_sel_hi:[1,0,1] neg_lo:[0,0,1] neg_hi:[0,0,1]
	v_pk_fma_f32 v[132:133], v[52:53], s[12:13], v[132:133] op_sel_hi:[1,0,1]
	v_pk_mul_f32 v[134:135], v[108:109], s[24:25] op_sel_hi:[1,0]
	;; [unrolled: 6-line block ×3, first 2 shown]
	v_mov_b32_e32 v150, v148
	v_mov_b32_e32 v151, v135
	v_pk_add_f32 v[140:141], v[150:151], v[140:141]
	v_pk_fma_f32 v[150:151], v[94:95], s[28:29], v[136:137] op_sel_hi:[1,0,1] neg_lo:[0,0,1] neg_hi:[0,0,1]
	v_pk_fma_f32 v[136:137], v[94:95], s[28:29], v[136:137] op_sel_hi:[1,0,1]
	v_mov_b32_e32 v152, v150
	v_mov_b32_e32 v153, v137
	v_pk_add_f32 v[140:141], v[152:153], v[140:141]
	v_pk_mul_f32 v[152:153], v[166:167], s[30:31] op_sel_hi:[1,0]
	v_pk_mul_f32 v[154:155], v[168:169], s[40:41] op_sel_hi:[1,0]
	v_pk_fma_f32 v[176:177], v[50:51], s[28:29], v[152:153] op_sel_hi:[1,0,1] neg_lo:[0,0,1] neg_hi:[0,0,1]
	v_pk_fma_f32 v[152:153], v[50:51], s[28:29], v[152:153] op_sel_hi:[1,0,1]
	v_mov_b32_e32 v178, v176
	v_mov_b32_e32 v179, v153
	v_pk_fma_f32 v[180:181], v[46:47], s[14:15], v[154:155] op_sel_hi:[1,0,1] neg_lo:[0,0,1] neg_hi:[0,0,1]
	v_pk_fma_f32 v[154:155], v[46:47], s[14:15], v[154:155] op_sel_hi:[1,0,1]
	v_pk_mul_f32 v[156:157], v[116:117], s[24:25] op_sel_hi:[1,0]
	v_pk_add_f32 v[178:179], v[36:37], v[178:179]
	v_mov_b32_e32 v182, v180
	v_mov_b32_e32 v183, v155
	s_mov_b32 s24, 0x3e750f2a
	v_pk_add_f32 v[178:179], v[182:183], v[178:179]
	v_pk_fma_f32 v[182:183], v[44:45], s[10:11], v[156:157] op_sel_hi:[1,0,1] neg_lo:[0,0,1] neg_hi:[0,0,1]
	v_pk_fma_f32 v[156:157], v[44:45], s[10:11], v[156:157] op_sel_hi:[1,0,1]
	v_pk_mul_f32 v[170:171], v[114:115], s[24:25] op_sel_hi:[1,0]
	v_mov_b32_e32 v184, v182
	v_mov_b32_e32 v185, v157
	v_pk_add_f32 v[178:179], v[184:185], v[178:179]
	v_pk_fma_f32 v[184:185], v[52:53], s[26:27], v[170:171] op_sel_hi:[1,0,1] neg_lo:[0,0,1] neg_hi:[0,0,1]
	v_pk_fma_f32 v[170:171], v[52:53], s[26:27], v[170:171] op_sel_hi:[1,0,1]
	v_pk_mul_f32 v[172:173], v[108:109], s[38:39] op_sel_hi:[1,0]
	v_mov_b32_e32 v186, v184
	v_mov_b32_e32 v187, v171
	v_pk_add_f32 v[178:179], v[186:187], v[178:179]
	v_pk_fma_f32 v[186:187], v[54:55], s[12:13], v[172:173] op_sel_hi:[1,0,1] neg_lo:[0,0,1] neg_hi:[0,0,1]
	v_pk_fma_f32 v[172:173], v[54:55], s[12:13], v[172:173] op_sel_hi:[1,0,1]
	v_pk_mul_f32 v[174:175], v[102:103], s[20:21] op_sel_hi:[1,0]
	v_mov_b32_e32 v188, v186
	v_mov_b32_e32 v189, v173
	v_pk_add_f32 v[178:179], v[188:189], v[178:179]
	v_pk_fma_f32 v[188:189], v[94:95], s[18:19], v[174:175] op_sel_hi:[1,0,1] neg_lo:[0,0,1] neg_hi:[0,0,1]
	v_pk_fma_f32 v[174:175], v[94:95], s[18:19], v[174:175] op_sel_hi:[1,0,1]
	v_mov_b32_e32 v190, v188
	v_mov_b32_e32 v191, v175
	v_pk_add_f32 v[178:179], v[190:191], v[178:179]
	v_pk_mul_f32 v[190:191], v[166:167], s[34:35] op_sel_hi:[1,0]
	v_pk_mul_f32 v[196:197], v[168:169], s[38:39] op_sel_hi:[1,0]
	v_pk_fma_f32 v[192:193], v[50:51], s[26:27], v[190:191] op_sel_hi:[1,0,1] neg_lo:[0,0,1] neg_hi:[0,0,1]
	v_pk_fma_f32 v[190:191], v[50:51], s[26:27], v[190:191] op_sel_hi:[1,0,1]
	v_mov_b32_e32 v194, v192
	v_mov_b32_e32 v195, v191
	v_pk_fma_f32 v[198:199], v[46:47], s[12:13], v[196:197] op_sel_hi:[1,0,1] neg_lo:[0,0,1] neg_hi:[0,0,1]
	v_pk_fma_f32 v[196:197], v[46:47], s[12:13], v[196:197] op_sel_hi:[1,0,1]
	v_pk_add_f32 v[194:195], v[36:37], v[194:195]
	v_mov_b32_e32 v200, v198
	v_mov_b32_e32 v201, v197
	v_pk_add_f32 v[194:195], v[200:201], v[194:195]
	v_pk_mul_f32 v[200:201], v[116:117], s[30:31] op_sel_hi:[1,0]
	s_mov_b32 s30, 0x3f52af12
	v_pk_fma_f32 v[202:203], v[44:45], s[28:29], v[200:201] op_sel_hi:[1,0,1] neg_lo:[0,0,1] neg_hi:[0,0,1]
	v_pk_fma_f32 v[200:201], v[44:45], s[28:29], v[200:201] op_sel_hi:[1,0,1]
	v_mov_b32_e32 v204, v202
	v_mov_b32_e32 v205, v201
	v_pk_add_f32 v[194:195], v[204:205], v[194:195]
	v_pk_mul_f32 v[204:205], v[114:115], s[30:31] op_sel_hi:[1,0]
	v_mov_b32_e32 v191, v193
	v_pk_fma_f32 v[206:207], v[52:53], s[10:11], v[204:205] op_sel_hi:[1,0,1] neg_lo:[0,0,1] neg_hi:[0,0,1]
	v_pk_fma_f32 v[204:205], v[52:53], s[10:11], v[204:205] op_sel_hi:[1,0,1]
	v_mov_b32_e32 v208, v206
	v_mov_b32_e32 v209, v205
	v_pk_add_f32 v[194:195], v[208:209], v[194:195]
	v_pk_mul_f32 v[208:209], v[108:109], s[20:21] op_sel_hi:[1,0]
	v_mov_b32_e32 v153, v177
	;; [unrolled: 7-line block ×3, first 2 shown]
	v_pk_fma_f32 v[214:215], v[94:95], s[14:15], v[212:213] op_sel_hi:[1,0,1] neg_lo:[0,0,1] neg_hi:[0,0,1]
	v_pk_fma_f32 v[212:213], v[94:95], s[14:15], v[212:213] op_sel_hi:[1,0,1]
	v_mov_b32_e32 v216, v214
	v_mov_b32_e32 v217, v213
	v_pk_add_f32 v[194:195], v[216:217], v[194:195]
	ds_write2_b64 v165, v[178:179], v[194:195] offset0:60 offset1:72
	v_pk_add_f32 v[178:179], v[36:37], v[190:191]
	v_pk_add_f32 v[152:153], v[36:37], v[152:153]
	v_mov_b32_e32 v155, v181
	v_pk_add_f32 v[178:179], v[196:197], v[178:179]
	v_mov_b32_e32 v201, v203
	;; [unrolled: 2-line block ×9, first 2 shown]
	v_pk_add_f32 v[178:179], v[212:213], v[178:179]
	v_pk_add_f32 v[152:153], v[174:175], v[152:153]
	ds_write2_b64 v165, v[178:179], v[152:153] offset0:84 offset1:96
	v_pk_mul_f32 v[152:153], v[166:167], s[20:21] op_sel_hi:[1,0]
	v_pk_mul_f32 v[156:157], v[168:169], s[36:37] op_sel_hi:[1,0]
	v_pk_fma_f32 v[154:155], v[50:51], s[18:19], v[152:153] op_sel_hi:[1,0,1]
	v_pk_fma_f32 v[50:51], v[50:51], s[18:19], v[152:153] op_sel_hi:[1,0,1] neg_lo:[0,0,1] neg_hi:[0,0,1]
	v_mov_b32_e32 v152, v154
	v_mov_b32_e32 v153, v51
	v_pk_fma_f32 v[166:167], v[46:47], s[28:29], v[156:157] op_sel_hi:[1,0,1]
	v_pk_fma_f32 v[46:47], v[46:47], s[28:29], v[156:157] op_sel_hi:[1,0,1] neg_lo:[0,0,1] neg_hi:[0,0,1]
	v_pk_add_f32 v[152:153], v[36:37], v[152:153]
	v_mov_b32_e32 v156, v166
	v_mov_b32_e32 v157, v47
	v_pk_mul_f32 v[116:117], v[116:117], s[38:39] op_sel_hi:[1,0]
	v_pk_add_f32 v[152:153], v[156:157], v[152:153]
	v_pk_fma_f32 v[156:157], v[44:45], s[12:13], v[116:117] op_sel_hi:[1,0,1]
	v_pk_fma_f32 v[44:45], v[44:45], s[12:13], v[116:117] op_sel_hi:[1,0,1] neg_lo:[0,0,1] neg_hi:[0,0,1]
	v_mov_b32_e32 v116, v156
	v_mov_b32_e32 v117, v45
	v_pk_mul_f32 v[114:115], v[114:115], s[16:17] op_sel_hi:[1,0]
	v_pk_add_f32 v[116:117], v[116:117], v[152:153]
	v_pk_fma_f32 v[152:153], v[52:53], s[14:15], v[114:115] op_sel_hi:[1,0,1]
	v_pk_fma_f32 v[52:53], v[52:53], s[14:15], v[114:115] op_sel_hi:[1,0,1] neg_lo:[0,0,1] neg_hi:[0,0,1]
	v_mov_b32_e32 v51, v155
	v_mov_b32_e32 v114, v152
	;; [unrolled: 1-line block ×3, first 2 shown]
	v_pk_mul_f32 v[108:109], v[108:109], s[24:25] op_sel_hi:[1,0]
	v_pk_add_f32 v[50:51], v[36:37], v[50:51]
	v_mov_b32_e32 v47, v167
	v_pk_add_f32 v[114:115], v[114:115], v[116:117]
	v_pk_fma_f32 v[116:117], v[54:55], s[26:27], v[108:109] op_sel_hi:[1,0,1]
	v_pk_fma_f32 v[54:55], v[54:55], s[26:27], v[108:109] op_sel_hi:[1,0,1] neg_lo:[0,0,1] neg_hi:[0,0,1]
	v_pk_add_f32 v[46:47], v[46:47], v[50:51]
	v_mov_b32_e32 v45, v157
	v_mov_b32_e32 v108, v116
	v_mov_b32_e32 v109, v55
	v_pk_mul_f32 v[102:103], v[102:103], s[30:31] op_sel_hi:[1,0]
	v_pk_add_f32 v[44:45], v[44:45], v[46:47]
	v_mov_b32_e32 v53, v153
	v_pk_add_f32 v[108:109], v[108:109], v[114:115]
	v_pk_fma_f32 v[114:115], v[94:95], s[10:11], v[102:103] op_sel_hi:[1,0,1]
	v_pk_fma_f32 v[94:95], v[94:95], s[10:11], v[102:103] op_sel_hi:[1,0,1] neg_lo:[0,0,1] neg_hi:[0,0,1]
	v_pk_add_f32 v[44:45], v[52:53], v[44:45]
	v_mov_b32_e32 v55, v117
	v_mov_b32_e32 v103, v95
	v_pk_add_f32 v[44:45], v[54:55], v[44:45]
	v_mov_b32_e32 v95, v115
	v_pk_add_f32 v[44:45], v[94:95], v[44:45]
	v_mov_b32_e32 v119, v139
	v_mov_b32_e32 v97, v93
	ds_write2_b64 v165, v[140:141], v[44:45] offset0:36 offset1:48
	v_pk_add_f32 v[44:45], v[36:37], v[118:119]
	v_mov_b32_e32 v121, v143
	v_pk_add_f32 v[36:37], v[36:37], v[96:97]
	v_mov_b32_e32 v101, v99
	;; [unrolled: 2-line block ×8, first 2 shown]
	v_mov_b32_e32 v102, v114
	v_pk_add_f32 v[44:45], v[134:135], v[44:45]
	v_mov_b32_e32 v137, v151
	v_pk_add_f32 v[36:37], v[122:123], v[36:37]
	;; [unrolled: 2-line block ×3, first 2 shown]
	v_pk_add_f32 v[44:45], v[136:137], v[44:45]
	v_pk_add_f32 v[36:37], v[126:127], v[36:37]
	ds_write2_b64 v165, v[102:103], v[44:45] offset0:108 offset1:120
	ds_write2_b64 v165, v[36:37], v[48:49] offset0:132 offset1:144
.LBB0_7:
	s_or_b64 exec, exec, s[22:23]
	s_waitcnt lgkmcnt(0)
	s_barrier
	global_load_dwordx2 v[54:55], v[38:39], off offset:1248
	s_add_u32 s8, s8, 0x4e0
	s_addc_u32 s9, s9, 0
	v_lshlrev_b32_e32 v36, 3, v78
	global_load_dwordx2 v[104:105], v36, s[8:9] offset:416
	global_load_dwordx2 v[106:107], v36, s[8:9] offset:832
	;; [unrolled: 1-line block ×11, first 2 shown]
	ds_read2_b64 v[36:39], v69 offset1:13
	ds_read2_b64 v[44:47], v69 offset0:52 offset1:65
	ds_read2_b64 v[50:53], v69 offset0:104 offset1:117
	;; [unrolled: 1-line block ×5, first 2 shown]
	s_mov_b32 s8, 0x3f5db3d7
	s_waitcnt vmcnt(8) lgkmcnt(5)
	v_mul_f32_e32 v128, v39, v109
	s_waitcnt vmcnt(7) lgkmcnt(4)
	v_mul_f32_e32 v129, v47, v111
	;; [unrolled: 2-line block ×4, first 2 shown]
	v_mul_f32_e32 v126, v37, v55
	v_mul_f32_e32 v127, v36, v55
	v_fma_f32 v126, v36, v54, -v126
	v_fmac_f32_e32 v127, v37, v54
	v_mul_f32_e32 v36, v45, v105
	v_mul_f32_e32 v37, v44, v105
	;; [unrolled: 1-line block ×8, first 2 shown]
	s_waitcnt vmcnt(4) lgkmcnt(1)
	v_mul_f32_e32 v132, v97, v117
	v_mul_f32_e32 v113, v96, v117
	s_waitcnt vmcnt(3) lgkmcnt(0)
	v_mul_f32_e32 v133, v101, v119
	v_mul_f32_e32 v115, v100, v119
	s_waitcnt vmcnt(2)
	v_mul_f32_e32 v134, v95, v121
	v_mul_f32_e32 v117, v94, v121
	s_waitcnt vmcnt(1)
	;; [unrolled: 3-line block ×3, first 2 shown]
	v_mul_f32_e32 v123, v103, v125
	v_mul_f32_e32 v121, v102, v125
	v_fma_f32 v36, v44, v104, -v36
	v_fmac_f32_e32 v37, v45, v104
	v_fma_f32 v104, v38, v108, -v128
	v_fmac_f32_e32 v105, v39, v108
	;; [unrolled: 2-line block ×11, first 2 shown]
	ds_write2_b64 v69, v[126:127], v[104:105] offset1:13
	ds_write2_b64 v69, v[36:37], v[106:107] offset0:52 offset1:65
	ds_write2_b64 v69, v[54:55], v[108:109] offset0:104 offset1:117
	;; [unrolled: 1-line block ×5, first 2 shown]
	s_waitcnt lgkmcnt(0)
	s_barrier
	ds_read2_b64 v[36:39], v69 offset1:13
	ds_read2_b64 v[44:47], v69 offset0:52 offset1:65
	ds_read2_b64 v[50:53], v69 offset0:104 offset1:117
	;; [unrolled: 1-line block ×3, first 2 shown]
	s_waitcnt lgkmcnt(2)
	v_pk_add_f32 v[54:55], v[38:39], v[46:47]
	s_waitcnt lgkmcnt(1)
	v_pk_add_f32 v[96:97], v[46:47], v[52:53]
	v_pk_add_f32 v[46:47], v[46:47], v[52:53] neg_lo:[0,1] neg_hi:[0,1]
	v_pk_add_f32 v[100:101], v[54:55], v[52:53]
	v_pk_fma_f32 v[38:39], v[96:97], 0.5, v[38:39] op_sel_hi:[1,0,1] neg_lo:[1,0,0] neg_hi:[1,0,0]
	ds_read2_b64 v[52:55], v69 offset0:78 offset1:91
	ds_read2_b64 v[96:99], v69 offset0:130 offset1:143
	v_pk_mul_f32 v[46:47], v[46:47], s[8:9] op_sel_hi:[1,0]
	v_pk_add_f32 v[106:107], v[44:45], v[50:51]
	v_pk_add_f32 v[102:103], v[38:39], v[46:47] op_sel:[0,1] op_sel_hi:[1,0] neg_lo:[0,1] neg_hi:[0,1]
	v_pk_add_f32 v[38:39], v[38:39], v[46:47] op_sel:[0,1] op_sel_hi:[1,0]
	s_waitcnt lgkmcnt(0)
	v_pk_add_f32 v[104:105], v[52:53], v[96:97]
	v_pk_add_f32 v[46:47], v[92:93], v[52:53]
	v_pk_fma_f32 v[92:93], v[104:105], 0.5, v[92:93] op_sel_hi:[1,0,1] neg_lo:[1,0,0] neg_hi:[1,0,0]
	v_pk_add_f32 v[104:105], v[36:37], v[44:45]
	v_pk_add_f32 v[44:45], v[44:45], v[50:51] neg_lo:[0,1] neg_hi:[0,1]
	v_pk_fma_f32 v[36:37], v[106:107], 0.5, v[36:37] op_sel_hi:[1,0,1] neg_lo:[1,0,0] neg_hi:[1,0,0]
	v_pk_mul_f32 v[44:45], v[44:45], s[8:9] op_sel_hi:[1,0]
	v_pk_add_f32 v[52:53], v[52:53], v[96:97] neg_lo:[0,1] neg_hi:[0,1]
	v_pk_add_f32 v[104:105], v[104:105], v[50:51]
	v_pk_add_f32 v[50:51], v[36:37], v[44:45] op_sel:[0,1] op_sel_hi:[1,0] neg_lo:[0,1] neg_hi:[0,1]
	v_pk_add_f32 v[36:37], v[36:37], v[44:45] op_sel:[0,1] op_sel_hi:[1,0]
	v_pk_mul_f32 v[52:53], v[52:53], s[8:9] op_sel_hi:[1,0]
	v_mov_b32_e32 v45, v37
	v_mov_b32_e32 v37, v51
	v_pk_add_f32 v[46:47], v[46:47], v[96:97]
	v_pk_add_f32 v[96:97], v[92:93], v[52:53] op_sel:[0,1] op_sel_hi:[1,0] neg_lo:[0,1] neg_hi:[0,1]
	v_pk_add_f32 v[52:53], v[92:93], v[52:53] op_sel:[0,1] op_sel_hi:[1,0]
	s_barrier
	v_mov_b32_e32 v44, v50
	ds_write_b64 v159, v[36:37] offset:16
	v_mov_b32_e32 v36, v102
	v_mov_b32_e32 v37, v39
	ds_write2_b64 v159, v[104:105], v[44:45] offset1:1
	ds_write2_b64 v79, v[100:101], v[36:37] offset1:1
	v_mov_b32_e32 v39, v103
	v_mov_b32_e32 v36, v96
	;; [unrolled: 1-line block ×3, first 2 shown]
	ds_write_b64 v79, v[38:39] offset:16
	ds_write2_b64 v160, v[46:47], v[36:37] offset1:1
	v_pk_add_f32 v[36:37], v[54:55], v[98:99]
	v_pk_add_f32 v[38:39], v[54:55], v[98:99] neg_lo:[0,1] neg_hi:[0,1]
	v_pk_fma_f32 v[36:37], v[36:37], 0.5, v[94:95] op_sel_hi:[1,0,1] neg_lo:[1,0,0] neg_hi:[1,0,0]
	v_pk_mul_f32 v[38:39], v[38:39], s[8:9] op_sel_hi:[1,0]
	v_pk_add_f32 v[92:93], v[94:95], v[54:55]
	v_pk_add_f32 v[44:45], v[36:37], v[38:39] op_sel:[0,1] op_sel_hi:[1,0] neg_lo:[0,1] neg_hi:[0,1]
	v_pk_add_f32 v[36:37], v[36:37], v[38:39] op_sel:[0,1] op_sel_hi:[1,0]
	v_pk_add_f32 v[92:93], v[92:93], v[98:99]
	v_mov_b32_e32 v53, v97
	v_mov_b32_e32 v38, v44
	;; [unrolled: 1-line block ×4, first 2 shown]
	ds_write_b64 v160, v[52:53] offset:16
	ds_write2_b64 v161, v[92:93], v[38:39] offset1:1
	ds_write_b64 v161, v[36:37] offset:16
	s_waitcnt lgkmcnt(0)
	s_barrier
	ds_read2_b64 v[44:47], v69 offset0:26 offset1:39
	ds_read2_b64 v[50:53], v69 offset1:13
	v_mov_b32_e32 v36, v9
	ds_read2_b64 v[92:95], v69 offset0:78 offset1:91
	s_waitcnt lgkmcnt(2)
	v_pk_mul_f32 v[36:37], v[36:37], v[46:47] op_sel:[0,1] op_sel_hi:[1,0]
	s_nop 0
	v_pk_fma_f32 v[54:55], v[8:9], v[46:47], v[36:37]
	v_pk_mul_f32 v[36:37], v[8:9], v[46:47] op_sel:[0,1] op_sel_hi:[1,0]
	s_nop 0
	v_mov_b32_e32 v37, v36
	v_pk_fma_f32 v[46:47], v[8:9], v[46:47], v[36:37] op_sel:[0,1,0] op_sel_hi:[1,0,1] neg_lo:[1,0,0] neg_hi:[1,0,0]
	v_mov_b32_e32 v8, v11
	ds_read2_b64 v[36:39], v69 offset0:104 offset1:117
	s_waitcnt lgkmcnt(1)
	v_pk_mul_f32 v[8:9], v[8:9], v[92:93] op_sel:[0,1] op_sel_hi:[1,0]
	s_waitcnt lgkmcnt(0)
	v_pk_mul_f32 v[96:97], v[84:85], v[38:39] op_sel:[0,1] op_sel_hi:[1,0]
	v_pk_fma_f32 v[100:101], v[10:11], v[92:93], v[8:9]
	v_pk_mul_f32 v[8:9], v[10:11], v[92:93] op_sel:[0,1] op_sel_hi:[1,0]
	v_mov_b32_e32 v55, v96
	v_mov_b32_e32 v9, v8
	v_pk_fma_f32 v[92:93], v[10:11], v[92:93], v[8:9] op_sel:[0,1,0] op_sel_hi:[1,0,1] neg_lo:[1,0,0] neg_hi:[1,0,0]
	v_mov_b32_e32 v8, v85
	v_pk_mul_f32 v[8:9], v[8:9], v[38:39] op_sel:[0,1] op_sel_hi:[1,0]
	ds_read2_b64 v[96:99], v69 offset0:130 offset1:143
	v_pk_fma_f32 v[102:103], v[84:85], v[38:39], v[8:9]
	ds_read2_b64 v[8:11], v69 offset0:52 offset1:65
	v_pk_fma_f32 v[38:39], v[84:85], v[38:39], v[54:55] op_sel:[0,1,0] op_sel_hi:[1,0,1] neg_lo:[1,0,0] neg_hi:[1,0,0]
	v_mov_b32_e32 v101, v93
	v_mov_b32_e32 v38, v5
	;; [unrolled: 1-line block ×3, first 2 shown]
	s_waitcnt lgkmcnt(0)
	v_pk_mul_f32 v[84:85], v[38:39], v[10:11] op_sel:[0,1] op_sel_hi:[1,0]
	v_mov_b32_e32 v103, v39
	v_pk_fma_f32 v[84:85], v[4:5], v[10:11], v[84:85]
	v_pk_mul_f32 v[4:5], v[4:5], v[10:11] op_sel:[0,1] op_sel_hi:[1,0]
	v_pk_mul_f32 v[10:11], v[6:7], v[36:37]
	v_pk_mul_f32 v[0:1], v[0:1], v[8:9]
	v_mov_b32_e32 v11, v10
	v_pk_fma_f32 v[104:105], v[6:7], v[36:37], v[10:11]
	v_mov_b32_e32 v10, v37
	v_pk_mul_f32 v[106:107], v[6:7], v[10:11]
	v_mov_b32_e32 v6, v7
	v_pk_mul_f32 v[108:109], v[6:7], v[36:37]
	v_mov_b32_e32 v6, v91
	v_pk_mul_f32 v[6:7], v[6:7], v[98:99] op_sel:[0,1] op_sel_hi:[1,0]
	v_mov_b32_e32 v10, v4
	v_pk_fma_f32 v[110:111], v[90:91], v[98:99], v[6:7]
	v_pk_mul_f32 v[6:7], v[90:91], v[98:99] op_sel:[0,1] op_sel_hi:[1,0]
	v_mov_b32_e32 v107, v44
	v_mov_b32_e32 v11, v6
	;; [unrolled: 1-line block ×3, first 2 shown]
	v_pk_add_f32 v[90:91], v[10:11], v[6:7] neg_lo:[0,1] neg_hi:[0,1]
	v_pk_add_f32 v[6:7], v[50:51], v[100:101] neg_lo:[0,1] neg_hi:[0,1]
	;; [unrolled: 1-line block ×3, first 2 shown]
	v_pk_fma_f32 v[4:5], v[50:51], 2.0, v[6:7] op_sel_hi:[1,0,1] neg_lo:[0,0,1] neg_hi:[0,0,1]
	v_pk_fma_f32 v[36:37], v[54:55], 2.0, v[10:11] op_sel_hi:[1,0,1] neg_lo:[0,0,1] neg_hi:[0,0,1]
	v_pk_add_f32 v[46:47], v[6:7], v[10:11] op_sel:[0,1] op_sel_hi:[1,0] neg_lo:[0,1] neg_hi:[0,1]
	v_pk_add_f32 v[38:39], v[6:7], v[10:11] op_sel:[0,1] op_sel_hi:[1,0]
	v_pk_fma_f32 v[10:11], v[42:43], v[8:9], v[0:1] op_sel:[0,0,1] op_sel_hi:[1,1,0]
	v_pk_fma_f32 v[0:1], v[42:43], v[8:9], v[0:1] op_sel:[0,0,1] op_sel_hi:[1,1,0] neg_lo:[0,0,1] neg_hi:[0,0,1]
	v_mov_b32_e32 v109, v105
	v_mov_b32_e32 v11, v1
	v_pk_mul_f32 v[0:1], v[88:89], v[94:95]
	v_mov_b32_e32 v39, v47
	v_pk_fma_f32 v[8:9], v[2:3], v[94:95], v[0:1] op_sel:[0,0,1] op_sel_hi:[1,1,0]
	v_pk_fma_f32 v[0:1], v[2:3], v[94:95], v[0:1] op_sel:[0,0,1] op_sel_hi:[1,1,0] neg_lo:[0,0,1] neg_hi:[0,0,1]
	v_pk_add_f32 v[54:55], v[106:107], v[108:109] neg_lo:[0,1] neg_hi:[0,1]
	v_mov_b32_e32 v9, v1
	v_pk_mul_f32 v[0:1], v[86:87], v[96:97]
	v_pk_add_f32 v[46:47], v[84:85], v[110:111] neg_lo:[0,1] neg_hi:[0,1]
	v_pk_fma_f32 v[2:3], v[40:41], v[96:97], v[0:1] op_sel:[0,0,1] op_sel_hi:[1,1,0]
	v_pk_fma_f32 v[0:1], v[40:41], v[96:97], v[0:1] op_sel:[0,0,1] op_sel_hi:[1,1,0] neg_lo:[0,0,1] neg_hi:[0,0,1]
	v_pk_add_f32 v[40:41], v[52:53], v[8:9] neg_lo:[0,1] neg_hi:[0,1]
	v_mov_b32_e32 v3, v1
	v_pk_add_f32 v[2:3], v[10:11], v[2:3] neg_lo:[0,1] neg_hi:[0,1]
	v_pk_fma_f32 v[0:1], v[52:53], 2.0, v[40:41] op_sel_hi:[1,0,1] neg_lo:[0,0,1] neg_hi:[0,0,1]
	v_pk_fma_f32 v[8:9], v[10:11], 2.0, v[2:3] op_sel_hi:[1,0,1] neg_lo:[0,0,1] neg_hi:[0,0,1]
	v_pk_add_f32 v[10:11], v[40:41], v[2:3] op_sel:[0,1] op_sel_hi:[1,0]
	v_pk_add_f32 v[50:51], v[40:41], v[2:3] op_sel:[0,1] op_sel_hi:[1,0] neg_lo:[0,1] neg_hi:[0,1]
	v_fma_f32 v47, v84, 2.0, -v46
	v_mov_b32_e32 v11, v51
	v_pk_fma_f32 v[2:3], v[40:41], 2.0, v[10:11] op_sel_hi:[1,0,1] neg_lo:[0,0,1] neg_hi:[0,0,1]
	v_add_f32_e32 v41, v44, v44
	v_mov_b32_e32 v40, v91
	v_pk_add_f32 v[42:43], v[90:91], v[40:41] neg_lo:[0,1] neg_hi:[0,1]
	v_mov_b32_e32 v40, v45
	v_pk_add_f32 v[86:87], v[40:41], v[54:55] neg_lo:[0,1] neg_hi:[0,1]
	v_fma_f32 v50, v90, 2.0, -v42
	v_pk_add_f32 v[52:53], v[86:87], v[46:47] neg_lo:[0,1] neg_hi:[0,1]
	v_mov_b32_e32 v46, v55
	v_fma_f32 v41, v45, 2.0, -v86
	v_pk_add_f32 v[46:47], v[46:47], v[42:43]
	v_pk_add_f32 v[36:37], v[4:5], v[36:37] neg_lo:[0,1] neg_hi:[0,1]
	v_pk_add_f32 v[8:9], v[0:1], v[8:9] neg_lo:[0,1] neg_hi:[0,1]
	v_sub_f32_e32 v45, v41, v50
	v_mov_b32_e32 v40, v87
	v_mov_b32_e32 v44, v53
	;; [unrolled: 1-line block ×5, first 2 shown]
	v_pk_fma_f32 v[4:5], v[4:5], 2.0, v[36:37] op_sel_hi:[1,0,1] neg_lo:[0,0,1] neg_hi:[0,0,1]
	v_pk_fma_f32 v[6:7], v[6:7], 2.0, v[38:39] op_sel_hi:[1,0,1] neg_lo:[0,0,1] neg_hi:[0,0,1]
	;; [unrolled: 1-line block ×5, first 2 shown]
	s_barrier
	ds_write2_b64 v162, v[4:5], v[6:7] offset1:3
	ds_write2_b64 v162, v[36:37], v[38:39] offset0:6 offset1:9
	ds_write2_b64 v163, v[0:1], v[2:3] offset1:3
	ds_write2_b64 v163, v[8:9], v[10:11] offset0:6 offset1:9
	;; [unrolled: 2-line block ×3, first 2 shown]
	s_waitcnt lgkmcnt(0)
	s_barrier
	s_and_saveexec_b64 s[8:9], s[0:1]
	s_xor_b64 s[0:1], exec, s[8:9]
	s_andn2_saveexec_b64 s[0:1], s[0:1]
	s_cbranch_execz .LBB0_9
; %bb.8:
	ds_read2_b64 v[4:7], v69 offset1:12
	ds_read2_b64 v[36:39], v69 offset0:24 offset1:36
	ds_read2_b64 v[0:3], v69 offset0:48 offset1:60
	;; [unrolled: 1-line block ×5, first 2 shown]
	ds_read_b64 v[48:49], v69 offset:1152
	s_waitcnt lgkmcnt(3)
	v_mov_b32_e32 v52, v47
	v_mov_b32_e32 v53, v44
	s_waitcnt lgkmcnt(2)
	v_mov_b32_e32 v51, v11
.LBB0_9:
	s_or_b64 exec, exec, s[0:1]
	s_and_saveexec_b64 s[0:1], vcc
	s_cbranch_execz .LBB0_11
; %bb.10:
	v_mov_b32_e32 v54, v33
	v_mov_b32_e32 v55, v32
	;; [unrolled: 1-line block ×3, first 2 shown]
	v_pk_mul_f32 v[88:89], v[54:55], v[6:7]
	v_pk_mul_f32 v[86:87], v[54:55], v[44:45]
	v_mov_b32_e32 v44, v89
	v_pk_fma_f32 v[32:33], v[32:33], v[6:7], v[86:87]
	v_pk_fma_f32 v[6:7], v[54:55], v[6:7], v[44:45] neg_lo:[1,0,0] neg_hi:[1,0,0]
	v_mov_b32_e32 v44, v35
	v_pk_mul_f32 v[90:91], v[34:35], v[36:37] op_sel:[0,1] op_sel_hi:[1,0]
	v_pk_mul_f32 v[54:55], v[44:45], v[36:37] op_sel:[0,1] op_sel_hi:[1,0]
	v_mov_b32_e32 v44, v91
	v_mov_b32_e32 v84, v21
	;; [unrolled: 1-line block ×3, first 2 shown]
	v_pk_fma_f32 v[54:55], v[34:35], v[36:37], v[54:55]
	v_pk_fma_f32 v[34:35], v[34:35], v[36:37], v[44:45] op_sel:[0,1,0] op_sel_hi:[1,0,1] neg_lo:[0,0,1] neg_hi:[0,0,1]
	v_mov_b32_e32 v36, v39
	v_pk_mul_f32 v[36:37], v[84:85], v[36:37] op_sel_hi:[1,0]
	v_mov_b32_e32 v11, v6
	v_pk_fma_f32 v[20:21], v[20:21], v[38:39], v[36:37]
	v_mov_b32_e32 v36, v45
	v_pk_mul_f32 v[44:45], v[84:85], v[38:39]
	v_pk_mul_f32 v[94:95], v[14:15], v[8:9] op_sel:[0,1]
	v_mov_b32_e32 v44, v45
	v_mov_b32_e32 v50, v51
	v_pk_add_f32 v[96:97], v[10:11], v[4:5]
	v_pk_add_f32 v[98:99], v[4:5], v[32:33]
	s_waitcnt lgkmcnt(0)
	v_pk_mul_f32 v[86:87], v[30:31], v[48:49] op_sel:[0,1]
	v_pk_mul_f32 v[88:89], v[28:29], v[52:53] op_sel_hi:[1,0]
	v_pk_mul_f32 v[36:37], v[26:27], v[36:37] op_sel_hi:[1,0]
	v_pk_fma_f32 v[38:39], v[84:85], v[38:39], v[44:45] neg_lo:[1,0,0] neg_hi:[1,0,0]
	v_pk_mul_f32 v[44:45], v[22:23], v[0:1] op_sel:[0,1]
	v_pk_mul_f32 v[84:85], v[24:25], v[42:43] op_sel:[0,1]
	;; [unrolled: 1-line block ×4, first 2 shown]
	v_pk_mul_f32 v[50:51], v[16:17], v[50:51] op_sel_hi:[1,0]
	v_pk_fma_f32 v[102:103], v[14:15], v[8:9], v[94:95] op_sel:[0,0,1] op_sel_hi:[1,0,0]
	v_pk_fma_f32 v[94:95], v[14:15], v[8:9], v[94:95] op_sel:[0,0,1] op_sel_hi:[1,0,0] neg_lo:[1,0,0] neg_hi:[1,0,0]
	v_mov_b32_e32 v14, v54
	v_mov_b32_e32 v15, v34
	;; [unrolled: 1-line block ×3, first 2 shown]
	v_pk_fma_f32 v[100:101], v[30:31], v[48:49], v[86:87] op_sel:[0,0,1] op_sel_hi:[1,0,0]
	v_pk_fma_f32 v[30:31], v[30:31], v[48:49], v[86:87] op_sel:[0,0,1] op_sel_hi:[1,0,0] neg_lo:[1,0,0] neg_hi:[1,0,0]
	v_pk_fma_f32 v[86:87], v[28:29], v[46:47], v[88:89] op_sel:[0,0,1] op_sel_hi:[1,0,0]
	v_pk_fma_f32 v[46:47], v[28:29], v[46:47], v[88:89] op_sel:[0,0,1] op_sel_hi:[1,0,0] neg_lo:[1,0,0] neg_hi:[1,0,0]
	;; [unrolled: 2-line block ×8, first 2 shown]
	v_pk_add_f32 v[14:15], v[14:15], v[98:99]
	v_mov_b32_e32 v16, v20
	v_mov_b32_e32 v17, v38
	v_mov_b32_e32 v0, v84
	v_mov_b32_e32 v1, v23
	v_pk_add_f32 v[14:15], v[16:17], v[14:15]
	v_mov_b32_e32 v2, v92
	v_mov_b32_e32 v3, v13
	v_pk_add_f32 v[0:1], v[0:1], v[14:15]
	v_mov_b32_e32 v8, v102
	v_mov_b32_e32 v9, v95
	;; [unrolled: 3-line block ×8, first 2 shown]
	v_pk_add_f32 v[0:1], v[28:29], v[0:1]
	v_pk_add_f32 v[2:3], v[32:33], v[100:101] neg_lo:[0,1] neg_hi:[0,1]
	v_pk_add_f32 v[0:1], v[48:49], v[0:1]
	ds_write_b64 v69, v[0:1]
	v_pk_add_f32 v[0:1], v[32:33], v[100:101]
	v_pk_add_f32 v[26:27], v[6:7], v[30:31] op_sel:[0,1] neg_lo:[0,1] neg_hi:[0,1]
	v_mov_b32_e32 v1, v2
	v_pk_add_f32 v[14:15], v[6:7], v[30:31] op_sel_hi:[0,1]
	v_pk_add_f32 v[2:3], v[54:55], v[86:87]
	v_pk_add_f32 v[6:7], v[54:55], v[86:87] neg_lo:[0,1] neg_hi:[0,1]
	v_pk_add_f32 v[8:9], v[20:21], v[88:89] neg_lo:[0,1] neg_hi:[0,1]
	v_mov_b32_e32 v3, v6
	v_pk_add_f32 v[6:7], v[20:21], v[88:89]
	v_pk_add_f32 v[10:11], v[84:85], v[52:53] neg_lo:[0,1] neg_hi:[0,1]
	v_mov_b32_e32 v7, v8
	v_pk_add_f32 v[8:9], v[84:85], v[52:53]
	;; [unrolled: 3-line block ×3, first 2 shown]
	v_pk_add_f32 v[10:11], v[92:93], v[44:45]
	v_pk_add_f32 v[22:23], v[92:93], v[44:45] neg_lo:[0,1] neg_hi:[0,1]
	s_mov_b32 s9, 0xbeedf032
	s_mov_b32 s8, 0x3f62ad3f
	;; [unrolled: 1-line block ×3, first 2 shown]
	v_mov_b32_e32 v14, v26
	v_pk_add_f32 v[28:29], v[34:35], v[46:47] op_sel:[0,1] neg_lo:[0,1] neg_hi:[0,1]
	v_pk_add_f32 v[16:17], v[34:35], v[46:47] op_sel_hi:[0,1]
	v_mov_b32_e32 v11, v22
	v_pk_add_f32 v[34:35], v[12:13], v[40:41] neg_lo:[0,1] neg_hi:[0,1]
	v_pk_add_f32 v[22:23], v[12:13], v[40:41]
	v_pk_mul_f32 v[40:41], v[0:1], s[8:9]
	s_mov_b32 s24, s9
	s_mov_b32 s25, s8
	;; [unrolled: 1-line block ×3, first 2 shown]
	v_mov_b32_e32 v16, v28
	v_pk_add_f32 v[30:31], v[38:39], v[36:37] op_sel:[0,1] neg_lo:[0,1] neg_hi:[0,1]
	v_pk_add_f32 v[18:19], v[38:39], v[36:37] op_sel_hi:[0,1]
	v_pk_mul_f32 v[42:43], v[2:3], s[10:11]
	s_mov_b32 s40, s11
	s_mov_b32 s41, s10
	;; [unrolled: 1-line block ×3, first 2 shown]
	v_pk_fma_f32 v[38:39], v[26:27], s[24:25], v[40:41] neg_lo:[1,0,0] neg_hi:[1,0,0]
	v_pk_fma_f32 v[52:53], v[14:15], s[24:25], v[40:41]
	s_mov_b32 s19, 0xbf7e222b
	v_mov_b32_e32 v39, v53
	v_pk_fma_f32 v[54:55], v[28:29], s[40:41], v[42:43] neg_lo:[1,0,0] neg_hi:[1,0,0]
	v_pk_fma_f32 v[84:85], v[16:17], s[40:41], v[42:43]
	v_mov_b32_e32 v18, v30
	v_pk_mul_f32 v[44:45], v[6:7], s[18:19]
	s_mov_b32 s20, s19
	s_mov_b32 s21, s18
	;; [unrolled: 1-line block ×3, first 2 shown]
	v_pk_add_f32 v[38:39], v[4:5], v[38:39]
	v_mov_b32_e32 v55, v85
	s_mov_b32 s13, 0xbf6f5d39
	v_pk_add_f32 v[38:39], v[54:55], v[38:39]
	v_pk_fma_f32 v[54:55], v[30:31], s[20:21], v[44:45] neg_lo:[1,0,0] neg_hi:[1,0,0]
	v_pk_fma_f32 v[86:87], v[18:19], s[20:21], v[44:45]
	v_mov_b32_e32 v20, v33
	v_pk_mul_f32 v[46:47], v[8:9], s[12:13]
	s_mov_b32 s22, s13
	s_mov_b32 s23, s12
	;; [unrolled: 1-line block ×3, first 2 shown]
	v_mov_b32_e32 v55, v87
	v_pk_fma_f32 v[40:41], v[14:15], s[24:25], v[40:41] neg_lo:[0,0,1] neg_hi:[0,0,1]
	s_mov_b32 s17, 0xbf29c268
	v_pk_add_f32 v[38:39], v[54:55], v[38:39]
	v_pk_fma_f32 v[54:55], v[32:33], s[22:23], v[46:47] op_sel:[1,0,0] neg_lo:[1,0,0] neg_hi:[1,0,0]
	v_pk_fma_f32 v[88:89], v[20:21], s[22:23], v[46:47]
	v_mov_b32_e32 v53, v41
	v_pk_fma_f32 v[42:43], v[16:17], s[40:41], v[42:43] neg_lo:[0,0,1] neg_hi:[0,0,1]
	v_mov_b32_e32 v22, v35
	v_pk_add_f32 v[12:13], v[102:103], v[90:91]
	v_pk_add_f32 v[24:25], v[102:103], v[90:91] neg_lo:[0,1] neg_hi:[0,1]
	v_pk_mul_f32 v[48:49], v[10:11], s[16:17]
	s_mov_b32 s36, s17
	s_mov_b32 s37, s16
	;; [unrolled: 1-line block ×3, first 2 shown]
	v_mov_b32_e32 v55, v89
	v_pk_add_f32 v[40:41], v[4:5], v[52:53]
	v_mov_b32_e32 v85, v43
	v_pk_fma_f32 v[42:43], v[18:19], s[20:21], v[44:45] neg_lo:[0,0,1] neg_hi:[0,0,1]
	v_mov_b32_e32 v13, v24
	v_pk_add_f32 v[36:37], v[94:95], v[50:51] neg_lo:[0,1] neg_hi:[0,1]
	v_pk_add_f32 v[24:25], v[94:95], v[50:51]
	s_mov_b32 s15, 0xbe750f2a
	v_pk_add_f32 v[38:39], v[54:55], v[38:39]
	v_pk_fma_f32 v[54:55], v[34:35], s[36:37], v[48:49] op_sel:[1,0,0] neg_lo:[1,0,0] neg_hi:[1,0,0]
	v_pk_fma_f32 v[90:91], v[22:23], s[36:37], v[48:49]
	v_pk_add_f32 v[40:41], v[84:85], v[40:41]
	v_mov_b32_e32 v87, v43
	v_pk_fma_f32 v[42:43], v[20:21], s[22:23], v[46:47] neg_lo:[0,0,1] neg_hi:[0,0,1]
	v_mov_b32_e32 v24, v37
	v_pk_mul_f32 v[50:51], v[12:13], s[14:15]
	s_mov_b32 s38, s15
	s_mov_b32 s39, s14
	v_mov_b32_e32 v55, v91
	v_pk_add_f32 v[40:41], v[86:87], v[40:41]
	v_mov_b32_e32 v89, v43
	v_pk_fma_f32 v[42:43], v[22:23], s[36:37], v[48:49] neg_lo:[0,0,1] neg_hi:[0,0,1]
	v_pk_add_f32 v[38:39], v[54:55], v[38:39]
	v_pk_fma_f32 v[54:55], v[36:37], s[38:39], v[50:51] op_sel:[1,0,0] neg_lo:[1,0,0] neg_hi:[1,0,0]
	v_pk_fma_f32 v[92:93], v[24:25], s[38:39], v[50:51]
	v_pk_add_f32 v[40:41], v[88:89], v[40:41]
	v_mov_b32_e32 v91, v43
	v_pk_fma_f32 v[42:43], v[24:25], s[38:39], v[50:51] neg_lo:[0,0,1] neg_hi:[0,0,1]
	v_mov_b32_e32 v55, v93
	v_pk_add_f32 v[40:41], v[90:91], v[40:41]
	v_mov_b32_e32 v93, v43
	v_pk_mul_f32 v[42:43], v[14:15], s[40:41]
	v_pk_add_f32 v[92:93], v[92:93], v[40:41]
	v_pk_fma_f32 v[40:41], v[0:1], s[10:11], v[42:43]
	v_pk_fma_f32 v[44:45], v[0:1], s[10:11], v[42:43] neg_lo:[1,0,0] neg_hi:[1,0,0]
	v_pk_mul_f32 v[46:47], v[16:17], s[22:23]
	v_mov_b32_e32 v44, v40
	v_pk_add_f32 v[48:49], v[4:5], v[44:45]
	v_pk_fma_f32 v[44:45], v[2:3], s[12:13], v[46:47]
	v_pk_fma_f32 v[50:51], v[2:3], s[12:13], v[46:47] neg_lo:[1,0,0] neg_hi:[1,0,0]
	v_pk_add_f32 v[38:39], v[54:55], v[38:39]
	v_mov_b32_e32 v50, v44
	v_pk_add_f32 v[52:53], v[50:51], v[48:49]
	v_pk_mul_f32 v[50:51], v[18:19], s[38:39]
	s_mov_b32 s25, 0x3f29c268
	v_pk_fma_f32 v[48:49], v[6:7], s[14:15], v[50:51]
	v_pk_fma_f32 v[54:55], v[6:7], s[14:15], v[50:51] neg_lo:[1,0,0] neg_hi:[1,0,0]
	s_mov_b32 s28, s25
	v_mov_b32_e32 v54, v48
	s_mov_b32 s29, s16
	v_pk_add_f32 v[84:85], v[54:55], v[52:53]
	s_mov_b32 s24, s16
	v_pk_mul_f32 v[54:55], v[20:21], s[28:29]
	s_mov_b32 s27, 0x3f7e222b
	v_pk_fma_f32 v[52:53], v[8:9], s[24:25], v[54:55]
	v_pk_fma_f32 v[86:87], v[8:9], s[24:25], v[54:55] neg_lo:[1,0,0] neg_hi:[1,0,0]
	s_mov_b32 s44, s27
	v_mov_b32_e32 v86, v52
	s_mov_b32 s45, s18
	v_pk_add_f32 v[88:89], v[86:87], v[84:85]
	s_mov_b32 s26, s18
	v_pk_mul_f32 v[86:87], v[22:23], s[44:45]
	s_mov_b32 s9, 0x3eedf032
	v_pk_fma_f32 v[84:85], v[10:11], s[26:27], v[86:87]
	v_pk_fma_f32 v[90:91], v[10:11], s[26:27], v[86:87] neg_lo:[1,0,0] neg_hi:[1,0,0]
	s_mov_b32 s34, s9
	v_mov_b32_e32 v90, v84
	s_mov_b32 s35, s8
	v_pk_add_f32 v[94:95], v[90:91], v[88:89]
	v_pk_mul_f32 v[90:91], v[24:25], s[34:35]
	v_lshl_add_u32 v79, v78, 3, v158
	v_pk_fma_f32 v[88:89], v[12:13], s[8:9], v[90:91]
	v_pk_fma_f32 v[96:97], v[12:13], s[8:9], v[90:91] neg_lo:[1,0,0] neg_hi:[1,0,0]
	s_mov_b32 s31, 0x3f6f5d39
	v_mov_b32_e32 v96, v88
	v_pk_add_f32 v[94:95], v[96:97], v[94:95]
	ds_write2_b64 v79, v[92:93], v[94:95] offset0:12 offset1:24
	v_pk_mul_f32 v[92:93], v[14:15], s[20:21]
	v_pk_mul_f32 v[94:95], v[16:17], s[38:39]
	v_pk_fma_f32 v[104:105], v[0:1], s[18:19], v[92:93]
	v_pk_fma_f32 v[106:107], v[0:1], s[18:19], v[92:93] neg_lo:[1,0,0] neg_hi:[1,0,0]
	s_mov_b32 s42, s31
	s_mov_b32 s43, s12
	v_mov_b32_e32 v106, v104
	v_pk_fma_f32 v[108:109], v[2:3], s[14:15], v[94:95]
	v_pk_fma_f32 v[110:111], v[2:3], s[14:15], v[94:95] neg_lo:[1,0,0] neg_hi:[1,0,0]
	s_mov_b32 s30, s12
	v_pk_mul_f32 v[96:97], v[18:19], s[42:43]
	v_pk_add_f32 v[106:107], v[4:5], v[106:107]
	v_mov_b32_e32 v110, v108
	v_pk_add_f32 v[106:107], v[110:111], v[106:107]
	v_pk_fma_f32 v[110:111], v[6:7], s[30:31], v[96:97]
	v_pk_fma_f32 v[112:113], v[6:7], s[30:31], v[96:97] neg_lo:[1,0,0] neg_hi:[1,0,0]
	v_pk_mul_f32 v[98:99], v[20:21], s[34:35]
	v_mov_b32_e32 v112, v110
	v_pk_add_f32 v[106:107], v[112:113], v[106:107]
	v_pk_fma_f32 v[112:113], v[8:9], s[8:9], v[98:99]
	v_pk_fma_f32 v[114:115], v[8:9], s[8:9], v[98:99] neg_lo:[1,0,0] neg_hi:[1,0,0]
	v_pk_mul_f32 v[100:101], v[22:23], s[40:41]
	;; [unrolled: 5-line block ×4, first 2 shown]
	v_mov_b32_e32 v118, v116
	v_pk_add_f32 v[106:107], v[118:119], v[106:107]
	v_pk_mul_f32 v[118:119], v[14:15], s[36:37]
	v_pk_fma_f32 v[134:135], v[2:3], s[26:27], v[120:121]
	v_pk_fma_f32 v[130:131], v[0:1], s[16:17], v[118:119]
	v_pk_fma_f32 v[132:133], v[0:1], s[16:17], v[118:119] neg_lo:[1,0,0] neg_hi:[1,0,0]
	v_pk_fma_f32 v[136:137], v[2:3], s[26:27], v[120:121] neg_lo:[1,0,0] neg_hi:[1,0,0]
	v_mov_b32_e32 v132, v130
	v_pk_mul_f32 v[122:123], v[18:19], s[40:41]
	s_mov_b32 s43, 0x3e750f2a
	v_pk_add_f32 v[132:133], v[4:5], v[132:133]
	v_mov_b32_e32 v136, v134
	s_mov_b32 s40, s43
	s_mov_b32 s41, s14
	v_pk_add_f32 v[132:133], v[136:137], v[132:133]
	v_pk_fma_f32 v[136:137], v[6:7], s[10:11], v[122:123]
	v_pk_fma_f32 v[138:139], v[6:7], s[10:11], v[122:123] neg_lo:[1,0,0] neg_hi:[1,0,0]
	s_mov_b32 s42, s14
	v_pk_mul_f32 v[124:125], v[20:21], s[40:41]
	v_mov_b32_e32 v138, v136
	v_pk_add_f32 v[132:133], v[138:139], v[132:133]
	v_pk_fma_f32 v[138:139], v[8:9], s[42:43], v[124:125]
	v_pk_fma_f32 v[140:141], v[8:9], s[42:43], v[124:125] neg_lo:[1,0,0] neg_hi:[1,0,0]
	v_pk_mul_f32 v[126:127], v[22:23], s[34:35]
	v_mov_b32_e32 v140, v138
	v_pk_add_f32 v[132:133], v[140:141], v[132:133]
	v_pk_fma_f32 v[140:141], v[10:11], s[8:9], v[126:127]
	v_pk_fma_f32 v[142:143], v[10:11], s[8:9], v[126:127] neg_lo:[1,0,0] neg_hi:[1,0,0]
	;; [unrolled: 5-line block ×3, first 2 shown]
	v_pk_mul_f32 v[150:151], v[16:17], s[34:35]
	v_mov_b32_e32 v144, v142
	v_pk_add_f32 v[132:133], v[144:145], v[132:133]
	v_pk_mul_f32 v[144:145], v[14:15], s[38:39]
	v_pk_fma_f32 v[152:153], v[2:3], s[8:9], v[150:151]
	v_pk_fma_f32 v[146:147], v[0:1], s[14:15], v[144:145]
	v_pk_fma_f32 v[148:149], v[0:1], s[14:15], v[144:145] neg_lo:[1,0,0] neg_hi:[1,0,0]
	v_pk_fma_f32 v[154:155], v[2:3], s[8:9], v[150:151] neg_lo:[1,0,0] neg_hi:[1,0,0]
	v_mov_b32_e32 v148, v146
	v_pk_add_f32 v[148:149], v[4:5], v[148:149]
	v_mov_b32_e32 v154, v152
	v_pk_add_f32 v[148:149], v[154:155], v[148:149]
	v_pk_mul_f32 v[154:155], v[18:19], s[36:37]
	s_mov_b32 s39, 0x3f52af12
	v_pk_fma_f32 v[156:157], v[6:7], s[16:17], v[154:155]
	v_pk_fma_f32 v[158:159], v[6:7], s[16:17], v[154:155] neg_lo:[1,0,0] neg_hi:[1,0,0]
	s_mov_b32 s36, s39
	v_mov_b32_e32 v158, v156
	s_mov_b32 s37, s10
	v_pk_add_f32 v[148:149], v[158:159], v[148:149]
	s_mov_b32 s38, s10
	v_pk_mul_f32 v[158:159], v[20:21], s[36:37]
	v_pk_fma_f32 v[118:119], v[0:1], s[16:17], v[118:119] neg_lo:[0,0,1] neg_hi:[0,0,1]
	v_pk_fma_f32 v[160:161], v[8:9], s[38:39], v[158:159]
	v_pk_fma_f32 v[162:163], v[8:9], s[38:39], v[158:159] neg_lo:[1,0,0] neg_hi:[1,0,0]
	v_mov_b32_e32 v119, v131
	v_mov_b32_e32 v162, v160
	v_pk_add_f32 v[148:149], v[162:163], v[148:149]
	v_pk_mul_f32 v[162:163], v[22:23], s[22:23]
	v_pk_fma_f32 v[120:121], v[2:3], s[26:27], v[120:121] neg_lo:[0,0,1] neg_hi:[0,0,1]
	v_pk_fma_f32 v[164:165], v[10:11], s[12:13], v[162:163]
	v_pk_fma_f32 v[166:167], v[10:11], s[12:13], v[162:163] neg_lo:[1,0,0] neg_hi:[1,0,0]
	v_pk_add_f32 v[118:119], v[4:5], v[118:119]
	v_mov_b32_e32 v166, v164
	v_pk_add_f32 v[148:149], v[166:167], v[148:149]
	v_pk_mul_f32 v[166:167], v[24:25], s[44:45]
	v_mov_b32_e32 v121, v135
	v_pk_fma_f32 v[168:169], v[12:13], s[26:27], v[166:167]
	v_pk_fma_f32 v[170:171], v[12:13], s[26:27], v[166:167] neg_lo:[1,0,0] neg_hi:[1,0,0]
	v_pk_add_f32 v[118:119], v[120:121], v[118:119]
	v_mov_b32_e32 v170, v168
	v_pk_add_f32 v[148:149], v[170:171], v[148:149]
	ds_write2_b64 v79, v[132:133], v[148:149] offset0:60 offset1:72
	v_pk_fma_f32 v[132:133], v[0:1], s[14:15], v[144:145] neg_lo:[0,0,1] neg_hi:[0,0,1]
	v_pk_fma_f32 v[144:145], v[2:3], s[8:9], v[150:151] neg_lo:[0,0,1] neg_hi:[0,0,1]
	v_mov_b32_e32 v133, v147
	v_pk_add_f32 v[132:133], v[4:5], v[132:133]
	v_mov_b32_e32 v145, v153
	v_pk_add_f32 v[132:133], v[144:145], v[132:133]
	v_pk_fma_f32 v[144:145], v[6:7], s[16:17], v[154:155] neg_lo:[0,0,1] neg_hi:[0,0,1]
	v_pk_fma_f32 v[120:121], v[6:7], s[10:11], v[122:123] neg_lo:[0,0,1] neg_hi:[0,0,1]
	v_mov_b32_e32 v145, v157
	v_mov_b32_e32 v121, v137
	v_pk_add_f32 v[132:133], v[144:145], v[132:133]
	v_pk_fma_f32 v[144:145], v[8:9], s[38:39], v[158:159] neg_lo:[0,0,1] neg_hi:[0,0,1]
	v_pk_add_f32 v[118:119], v[120:121], v[118:119]
	v_pk_fma_f32 v[120:121], v[8:9], s[42:43], v[124:125] neg_lo:[0,0,1] neg_hi:[0,0,1]
	v_mov_b32_e32 v145, v161
	v_mov_b32_e32 v121, v139
	v_pk_add_f32 v[132:133], v[144:145], v[132:133]
	v_pk_fma_f32 v[144:145], v[10:11], s[12:13], v[162:163] neg_lo:[0,0,1] neg_hi:[0,0,1]
	v_pk_add_f32 v[118:119], v[120:121], v[118:119]
	;; [unrolled: 6-line block ×3, first 2 shown]
	v_pk_fma_f32 v[120:121], v[12:13], s[12:13], v[128:129] neg_lo:[0,0,1] neg_hi:[0,0,1]
	v_mov_b32_e32 v145, v169
	v_mov_b32_e32 v121, v143
	v_pk_add_f32 v[132:133], v[144:145], v[132:133]
	v_pk_add_f32 v[118:119], v[120:121], v[118:119]
	ds_write2_b64 v79, v[132:133], v[118:119] offset0:84 offset1:96
	v_pk_mul_f32 v[118:119], v[0:1], s[12:13]
	v_pk_mul_f32 v[122:123], v[2:3], s[24:25]
	v_pk_fma_f32 v[26:27], v[26:27], s[22:23], v[118:119] neg_lo:[1,0,0] neg_hi:[1,0,0]
	v_pk_fma_f32 v[120:121], v[14:15], s[22:23], v[118:119]
	v_pk_fma_f32 v[28:29], v[28:29], s[28:29], v[122:123] neg_lo:[1,0,0] neg_hi:[1,0,0]
	v_mov_b32_e32 v27, v121
	v_pk_fma_f32 v[124:125], v[16:17], s[28:29], v[122:123]
	v_pk_add_f32 v[26:27], v[4:5], v[26:27]
	v_mov_b32_e32 v29, v125
	v_pk_add_f32 v[26:27], v[28:29], v[26:27]
	v_pk_mul_f32 v[28:29], v[6:7], s[8:9]
	v_pk_fma_f32 v[14:15], v[14:15], s[22:23], v[118:119] neg_lo:[0,0,1] neg_hi:[0,0,1]
	v_pk_fma_f32 v[30:31], v[30:31], s[34:35], v[28:29] neg_lo:[1,0,0] neg_hi:[1,0,0]
	v_pk_fma_f32 v[126:127], v[18:19], s[34:35], v[28:29]
	v_mov_b32_e32 v121, v15
	v_mov_b32_e32 v31, v127
	v_pk_add_f32 v[26:27], v[30:31], v[26:27]
	v_pk_mul_f32 v[30:31], v[8:9], s[18:19]
	v_pk_fma_f32 v[16:17], v[16:17], s[28:29], v[122:123] neg_lo:[0,0,1] neg_hi:[0,0,1]
	v_pk_fma_f32 v[32:33], v[32:33], s[20:21], v[30:31] op_sel:[1,0,0] neg_lo:[1,0,0] neg_hi:[1,0,0]
	v_pk_fma_f32 v[128:129], v[20:21], s[20:21], v[30:31]
	v_pk_add_f32 v[14:15], v[4:5], v[120:121]
	v_mov_b32_e32 v33, v129
	v_pk_add_f32 v[26:27], v[32:33], v[26:27]
	v_pk_mul_f32 v[32:33], v[10:11], s[42:43]
	v_mov_b32_e32 v125, v17
	v_pk_fma_f32 v[34:35], v[34:35], s[40:41], v[32:33] op_sel:[1,0,0] neg_lo:[1,0,0] neg_hi:[1,0,0]
	v_pk_fma_f32 v[130:131], v[22:23], s[40:41], v[32:33]
	v_pk_fma_f32 v[16:17], v[18:19], s[34:35], v[28:29] neg_lo:[0,0,1] neg_hi:[0,0,1]
	v_mov_b32_e32 v35, v131
	v_pk_add_f32 v[14:15], v[124:125], v[14:15]
	v_mov_b32_e32 v127, v17
	v_pk_fma_f32 v[16:17], v[20:21], s[20:21], v[30:31] neg_lo:[0,0,1] neg_hi:[0,0,1]
	v_pk_add_f32 v[26:27], v[34:35], v[26:27]
	v_pk_mul_f32 v[34:35], v[12:13], s[38:39]
	v_pk_add_f32 v[14:15], v[126:127], v[14:15]
	v_mov_b32_e32 v129, v17
	v_pk_fma_f32 v[16:17], v[22:23], s[40:41], v[32:33] neg_lo:[0,0,1] neg_hi:[0,0,1]
	v_pk_fma_f32 v[36:37], v[36:37], s[36:37], v[34:35] op_sel:[1,0,0] neg_lo:[1,0,0] neg_hi:[1,0,0]
	v_pk_fma_f32 v[132:133], v[24:25], s[36:37], v[34:35]
	v_pk_add_f32 v[14:15], v[128:129], v[14:15]
	v_mov_b32_e32 v131, v17
	v_pk_fma_f32 v[16:17], v[24:25], s[36:37], v[34:35] neg_lo:[0,0,1] neg_hi:[0,0,1]
	v_mov_b32_e32 v37, v133
	v_pk_add_f32 v[14:15], v[130:131], v[14:15]
	v_mov_b32_e32 v133, v17
	v_pk_add_f32 v[14:15], v[132:133], v[14:15]
	ds_write2_b64 v79, v[106:107], v[14:15] offset0:36 offset1:48
	v_pk_fma_f32 v[14:15], v[0:1], s[18:19], v[92:93] neg_lo:[0,0,1] neg_hi:[0,0,1]
	v_pk_fma_f32 v[0:1], v[0:1], s[10:11], v[42:43] neg_lo:[0,0,1] neg_hi:[0,0,1]
	v_mov_b32_e32 v15, v105
	v_pk_fma_f32 v[16:17], v[2:3], s[14:15], v[94:95] neg_lo:[0,0,1] neg_hi:[0,0,1]
	v_mov_b32_e32 v1, v41
	v_pk_fma_f32 v[2:3], v[2:3], s[12:13], v[46:47] neg_lo:[0,0,1] neg_hi:[0,0,1]
	v_pk_add_f32 v[14:15], v[4:5], v[14:15]
	v_mov_b32_e32 v17, v109
	v_pk_add_f32 v[0:1], v[4:5], v[0:1]
	v_mov_b32_e32 v3, v45
	v_pk_add_f32 v[14:15], v[16:17], v[14:15]
	v_pk_fma_f32 v[16:17], v[6:7], s[30:31], v[96:97] neg_lo:[0,0,1] neg_hi:[0,0,1]
	v_pk_add_f32 v[0:1], v[2:3], v[0:1]
	v_pk_fma_f32 v[2:3], v[6:7], s[14:15], v[50:51] neg_lo:[0,0,1] neg_hi:[0,0,1]
	v_mov_b32_e32 v17, v111
	v_mov_b32_e32 v3, v49
	v_pk_add_f32 v[14:15], v[16:17], v[14:15]
	v_pk_fma_f32 v[16:17], v[8:9], s[8:9], v[98:99] neg_lo:[0,0,1] neg_hi:[0,0,1]
	v_pk_add_f32 v[0:1], v[2:3], v[0:1]
	v_pk_fma_f32 v[2:3], v[8:9], s[24:25], v[54:55] neg_lo:[0,0,1] neg_hi:[0,0,1]
	v_mov_b32_e32 v17, v113
	;; [unrolled: 6-line block ×4, first 2 shown]
	v_mov_b32_e32 v3, v89
	v_pk_add_f32 v[26:27], v[36:37], v[26:27]
	v_pk_add_f32 v[14:15], v[16:17], v[14:15]
	;; [unrolled: 1-line block ×3, first 2 shown]
	ds_write2_b64 v79, v[26:27], v[14:15] offset0:108 offset1:120
	ds_write2_b64 v79, v[0:1], v[38:39] offset0:132 offset1:144
.LBB0_11:
	s_or_b64 exec, exec, s[0:1]
	s_waitcnt lgkmcnt(0)
	s_barrier
	ds_read2_b64 v[0:3], v69 offset1:13
	v_mad_u64_u32 v[10:11], s[0:1], s6, v68, 0
	v_mov_b32_e32 v4, v11
	v_mad_u64_u32 v[4:5], s[0:1], s7, v68, v[4:5]
	v_mov_b32_e32 v11, v4
	s_waitcnt lgkmcnt(0)
	v_mul_f32_e32 v4, v83, v1
	v_fmac_f32_e32 v4, v82, v0
	v_mul_f32_e32 v0, v83, v0
	s_mov_b32 s0, 0x1a41a41a
	v_fma_f32 v0, v82, v1, -v0
	s_mov_b32 s1, 0x3f7a41a4
	v_cvt_f64_f32_e32 v[0:1], v0
	v_cvt_f64_f32_e32 v[4:5], v4
	v_mul_f64 v[0:1], v[0:1], s[0:1]
	v_mov_b32_e32 v8, s2
	v_mov_b32_e32 v9, s3
	v_mul_f64 v[4:5], v[4:5], s[0:1]
	v_cvt_f32_f64_e32 v13, v[0:1]
	v_mad_u64_u32 v[0:1], s[2:3], s4, v78, 0
	v_cvt_f32_f64_e32 v12, v[4:5]
	v_mov_b32_e32 v4, v1
	v_mad_u64_u32 v[14:15], s[2:3], s5, v78, v[4:5]
	ds_read2_b64 v[4:7], v69 offset0:52 offset1:65
	v_mov_b32_e32 v1, v14
	v_lshl_add_u64 v[8:9], v[10:11], 3, v[8:9]
	v_lshl_add_u64 v[0:1], v[0:1], 3, v[8:9]
	global_store_dwordx2 v[0:1], v[12:13], off
	s_waitcnt lgkmcnt(0)
	v_mul_f32_e32 v8, v81, v5
	v_fmac_f32_e32 v8, v80, v4
	v_cvt_f64_f32_e32 v[8:9], v8
	v_mul_f64 v[8:9], v[8:9], s[0:1]
	v_cvt_f32_f64_e32 v12, v[8:9]
	ds_read2_b64 v[8:11], v69 offset0:104 offset1:117
	v_mul_f32_e32 v4, v81, v4
	v_fma_f32 v4, v80, v5, -v4
	v_cvt_f64_f32_e32 v[4:5], v4
	v_mul_f64 v[4:5], v[4:5], s[0:1]
	v_cvt_f32_f64_e32 v13, v[4:5]
	s_waitcnt lgkmcnt(0)
	v_mul_f32_e32 v4, v75, v9
	v_fmac_f32_e32 v4, v74, v8
	v_cvt_f64_f32_e32 v[4:5], v4
	v_mul_f64 v[4:5], v[4:5], s[0:1]
	v_mov_b32_e32 v14, 0x1a0
	v_cvt_f32_f64_e32 v4, v[4:5]
	v_mul_f32_e32 v5, v75, v8
	v_mad_u64_u32 v[0:1], s[2:3], s4, v14, v[0:1]
	s_mul_i32 s6, s5, 0x1a0
	v_fma_f32 v5, v74, v9, -v5
	v_add_u32_e32 v1, s6, v1
	v_cvt_f64_f32_e32 v[8:9], v5
	global_store_dwordx2 v[0:1], v[12:13], off
	v_mul_f64 v[8:9], v[8:9], s[0:1]
	v_mad_u64_u32 v[0:1], s[2:3], s4, v14, v[0:1]
	v_cvt_f32_f64_e32 v5, v[8:9]
	v_add_u32_e32 v1, s6, v1
	global_store_dwordx2 v[0:1], v[4:5], off
	v_mul_f32_e32 v4, v77, v3
	v_fmac_f32_e32 v4, v76, v2
	v_mul_f32_e32 v2, v77, v2
	v_fma_f32 v2, v76, v3, -v2
	v_cvt_f64_f32_e32 v[4:5], v4
	v_cvt_f64_f32_e32 v[2:3], v2
	v_mul_f64 v[4:5], v[4:5], s[0:1]
	v_mul_f64 v[2:3], v[2:3], s[0:1]
	v_cvt_f32_f64_e32 v4, v[4:5]
	v_cvt_f32_f64_e32 v5, v[2:3]
	v_mul_f32_e32 v2, v73, v7
	v_mov_b32_e32 v15, 0xfffffd28
	v_fmac_f32_e32 v2, v72, v6
	v_mad_u64_u32 v[0:1], s[2:3], s4, v15, v[0:1]
	v_cvt_f64_f32_e32 v[2:3], v2
	s_mul_i32 s2, s5, 0xfffffd28
	v_mul_f64 v[2:3], v[2:3], s[0:1]
	s_sub_i32 s5, s2, s4
	v_cvt_f32_f64_e32 v2, v[2:3]
	v_mul_f32_e32 v3, v73, v6
	v_add_u32_e32 v1, s5, v1
	v_fma_f32 v3, v72, v7, -v3
	global_store_dwordx2 v[0:1], v[4:5], off
	v_cvt_f64_f32_e32 v[4:5], v3
	v_mul_f64 v[4:5], v[4:5], s[0:1]
	v_cvt_f32_f64_e32 v3, v[4:5]
	v_mad_u64_u32 v[4:5], s[2:3], s4, v14, v[0:1]
	v_mul_f32_e32 v0, v71, v11
	v_fmac_f32_e32 v0, v70, v10
	v_cvt_f64_f32_e32 v[0:1], v0
	v_mul_f64 v[0:1], v[0:1], s[0:1]
	v_cvt_f32_f64_e32 v6, v[0:1]
	v_mul_f32_e32 v0, v71, v10
	v_fma_f32 v0, v70, v11, -v0
	v_cvt_f64_f32_e32 v[0:1], v0
	v_add_u32_e32 v5, s6, v5
	v_mul_f64 v[0:1], v[0:1], s[0:1]
	global_store_dwordx2 v[4:5], v[2:3], off
	v_cvt_f32_f64_e32 v7, v[0:1]
	ds_read2_b64 v[0:3], v69 offset0:26 offset1:39
	v_mad_u64_u32 v[8:9], s[2:3], s4, v14, v[4:5]
	v_add_u32_e32 v9, s6, v9
	global_store_dwordx2 v[8:9], v[6:7], off
	s_waitcnt lgkmcnt(0)
	v_mul_f32_e32 v4, v67, v1
	v_fmac_f32_e32 v4, v66, v0
	v_cvt_f64_f32_e32 v[4:5], v4
	v_mul_f64 v[4:5], v[4:5], s[0:1]
	v_cvt_f32_f64_e32 v10, v[4:5]
	ds_read2_b64 v[4:7], v69 offset0:78 offset1:91
	v_mul_f32_e32 v0, v67, v0
	v_fma_f32 v0, v66, v1, -v0
	v_cvt_f64_f32_e32 v[0:1], v0
	v_mul_f64 v[0:1], v[0:1], s[0:1]
	v_cvt_f32_f64_e32 v11, v[0:1]
	v_mad_u64_u32 v[0:1], s[2:3], s4, v15, v[8:9]
	s_waitcnt lgkmcnt(0)
	v_mul_f32_e32 v8, v65, v5
	v_fmac_f32_e32 v8, v64, v4
	v_cvt_f64_f32_e32 v[8:9], v8
	v_add_u32_e32 v1, s5, v1
	v_mul_f64 v[8:9], v[8:9], s[0:1]
	global_store_dwordx2 v[0:1], v[10:11], off
	v_cvt_f32_f64_e32 v12, v[8:9]
	ds_read2_b64 v[8:11], v69 offset0:130 offset1:143
	v_mul_f32_e32 v4, v65, v4
	v_fma_f32 v4, v64, v5, -v4
	v_cvt_f64_f32_e32 v[4:5], v4
	v_mul_f64 v[4:5], v[4:5], s[0:1]
	v_cvt_f32_f64_e32 v13, v[4:5]
	s_waitcnt lgkmcnt(0)
	v_mul_f32_e32 v4, v63, v9
	v_fmac_f32_e32 v4, v62, v8
	v_cvt_f64_f32_e32 v[4:5], v4
	v_mul_f64 v[4:5], v[4:5], s[0:1]
	v_cvt_f32_f64_e32 v4, v[4:5]
	v_mul_f32_e32 v5, v63, v8
	v_mad_u64_u32 v[0:1], s[2:3], s4, v14, v[0:1]
	v_fma_f32 v5, v62, v9, -v5
	v_add_u32_e32 v1, s6, v1
	v_cvt_f64_f32_e32 v[8:9], v5
	global_store_dwordx2 v[0:1], v[12:13], off
	v_mul_f64 v[8:9], v[8:9], s[0:1]
	v_mad_u64_u32 v[0:1], s[2:3], s4, v14, v[0:1]
	v_cvt_f32_f64_e32 v5, v[8:9]
	v_add_u32_e32 v1, s6, v1
	global_store_dwordx2 v[0:1], v[4:5], off
	v_mul_f32_e32 v4, v61, v3
	v_fmac_f32_e32 v4, v60, v2
	v_mul_f32_e32 v2, v61, v2
	v_fma_f32 v2, v60, v3, -v2
	v_cvt_f64_f32_e32 v[4:5], v4
	v_cvt_f64_f32_e32 v[2:3], v2
	v_mul_f64 v[4:5], v[4:5], s[0:1]
	v_mul_f64 v[2:3], v[2:3], s[0:1]
	v_cvt_f32_f64_e32 v4, v[4:5]
	v_cvt_f32_f64_e32 v5, v[2:3]
	v_mul_f32_e32 v2, v59, v7
	v_fmac_f32_e32 v2, v58, v6
	v_cvt_f64_f32_e32 v[2:3], v2
	v_mul_f64 v[2:3], v[2:3], s[0:1]
	v_mad_u64_u32 v[0:1], s[2:3], s4, v15, v[0:1]
	v_cvt_f32_f64_e32 v2, v[2:3]
	v_mul_f32_e32 v3, v59, v6
	v_add_u32_e32 v1, s5, v1
	v_fma_f32 v3, v58, v7, -v3
	global_store_dwordx2 v[0:1], v[4:5], off
	v_cvt_f64_f32_e32 v[4:5], v3
	v_mul_f64 v[4:5], v[4:5], s[0:1]
	v_mad_u64_u32 v[0:1], s[2:3], s4, v14, v[0:1]
	v_cvt_f32_f64_e32 v3, v[4:5]
	v_add_u32_e32 v1, s6, v1
	global_store_dwordx2 v[0:1], v[2:3], off
	v_mul_f32_e32 v2, v57, v11
	v_fmac_f32_e32 v2, v56, v10
	v_cvt_f64_f32_e32 v[2:3], v2
	v_mul_f64 v[2:3], v[2:3], s[0:1]
	v_cvt_f32_f64_e32 v2, v[2:3]
	v_mul_f32_e32 v3, v57, v10
	v_fma_f32 v3, v56, v11, -v3
	v_cvt_f64_f32_e32 v[4:5], v3
	v_mul_f64 v[4:5], v[4:5], s[0:1]
	v_mad_u64_u32 v[0:1], s[0:1], s4, v14, v[0:1]
	v_cvt_f32_f64_e32 v3, v[4:5]
	v_add_u32_e32 v1, s6, v1
	global_store_dwordx2 v[0:1], v[2:3], off
.LBB0_12:
	s_endpgm
	.section	.rodata,"a",@progbits
	.p2align	6, 0x0
	.amdhsa_kernel bluestein_single_back_len156_dim1_sp_op_CI_CI
		.amdhsa_group_segment_fixed_size 11232
		.amdhsa_private_segment_fixed_size 0
		.amdhsa_kernarg_size 104
		.amdhsa_user_sgpr_count 2
		.amdhsa_user_sgpr_dispatch_ptr 0
		.amdhsa_user_sgpr_queue_ptr 0
		.amdhsa_user_sgpr_kernarg_segment_ptr 1
		.amdhsa_user_sgpr_dispatch_id 0
		.amdhsa_user_sgpr_kernarg_preload_length 0
		.amdhsa_user_sgpr_kernarg_preload_offset 0
		.amdhsa_user_sgpr_private_segment_size 0
		.amdhsa_uses_dynamic_stack 0
		.amdhsa_enable_private_segment 0
		.amdhsa_system_sgpr_workgroup_id_x 1
		.amdhsa_system_sgpr_workgroup_id_y 0
		.amdhsa_system_sgpr_workgroup_id_z 0
		.amdhsa_system_sgpr_workgroup_info 0
		.amdhsa_system_vgpr_workitem_id 0
		.amdhsa_next_free_vgpr 218
		.amdhsa_next_free_sgpr 46
		.amdhsa_accum_offset 220
		.amdhsa_reserve_vcc 1
		.amdhsa_float_round_mode_32 0
		.amdhsa_float_round_mode_16_64 0
		.amdhsa_float_denorm_mode_32 3
		.amdhsa_float_denorm_mode_16_64 3
		.amdhsa_dx10_clamp 1
		.amdhsa_ieee_mode 1
		.amdhsa_fp16_overflow 0
		.amdhsa_tg_split 0
		.amdhsa_exception_fp_ieee_invalid_op 0
		.amdhsa_exception_fp_denorm_src 0
		.amdhsa_exception_fp_ieee_div_zero 0
		.amdhsa_exception_fp_ieee_overflow 0
		.amdhsa_exception_fp_ieee_underflow 0
		.amdhsa_exception_fp_ieee_inexact 0
		.amdhsa_exception_int_div_zero 0
	.end_amdhsa_kernel
	.text
.Lfunc_end0:
	.size	bluestein_single_back_len156_dim1_sp_op_CI_CI, .Lfunc_end0-bluestein_single_back_len156_dim1_sp_op_CI_CI
                                        ; -- End function
	.section	.AMDGPU.csdata,"",@progbits
; Kernel info:
; codeLenInByte = 11392
; NumSgprs: 52
; NumVgprs: 218
; NumAgprs: 0
; TotalNumVgprs: 218
; ScratchSize: 0
; MemoryBound: 0
; FloatMode: 240
; IeeeMode: 1
; LDSByteSize: 11232 bytes/workgroup (compile time only)
; SGPRBlocks: 6
; VGPRBlocks: 27
; NumSGPRsForWavesPerEU: 52
; NumVGPRsForWavesPerEU: 218
; AccumOffset: 220
; Occupancy: 2
; WaveLimiterHint : 1
; COMPUTE_PGM_RSRC2:SCRATCH_EN: 0
; COMPUTE_PGM_RSRC2:USER_SGPR: 2
; COMPUTE_PGM_RSRC2:TRAP_HANDLER: 0
; COMPUTE_PGM_RSRC2:TGID_X_EN: 1
; COMPUTE_PGM_RSRC2:TGID_Y_EN: 0
; COMPUTE_PGM_RSRC2:TGID_Z_EN: 0
; COMPUTE_PGM_RSRC2:TIDIG_COMP_CNT: 0
; COMPUTE_PGM_RSRC3_GFX90A:ACCUM_OFFSET: 54
; COMPUTE_PGM_RSRC3_GFX90A:TG_SPLIT: 0
	.text
	.p2alignl 6, 3212836864
	.fill 256, 4, 3212836864
	.type	__hip_cuid_56b660d95eb272f2,@object ; @__hip_cuid_56b660d95eb272f2
	.section	.bss,"aw",@nobits
	.globl	__hip_cuid_56b660d95eb272f2
__hip_cuid_56b660d95eb272f2:
	.byte	0                               ; 0x0
	.size	__hip_cuid_56b660d95eb272f2, 1

	.ident	"AMD clang version 19.0.0git (https://github.com/RadeonOpenCompute/llvm-project roc-6.4.0 25133 c7fe45cf4b819c5991fe208aaa96edf142730f1d)"
	.section	".note.GNU-stack","",@progbits
	.addrsig
	.addrsig_sym __hip_cuid_56b660d95eb272f2
	.amdgpu_metadata
---
amdhsa.kernels:
  - .agpr_count:     0
    .args:
      - .actual_access:  read_only
        .address_space:  global
        .offset:         0
        .size:           8
        .value_kind:     global_buffer
      - .actual_access:  read_only
        .address_space:  global
        .offset:         8
        .size:           8
        .value_kind:     global_buffer
      - .actual_access:  read_only
        .address_space:  global
        .offset:         16
        .size:           8
        .value_kind:     global_buffer
      - .actual_access:  read_only
        .address_space:  global
        .offset:         24
        .size:           8
        .value_kind:     global_buffer
      - .actual_access:  read_only
        .address_space:  global
        .offset:         32
        .size:           8
        .value_kind:     global_buffer
      - .offset:         40
        .size:           8
        .value_kind:     by_value
      - .address_space:  global
        .offset:         48
        .size:           8
        .value_kind:     global_buffer
      - .address_space:  global
        .offset:         56
        .size:           8
        .value_kind:     global_buffer
      - .address_space:  global
        .offset:         64
        .size:           8
        .value_kind:     global_buffer
      - .address_space:  global
        .offset:         72
        .size:           8
        .value_kind:     global_buffer
      - .offset:         80
        .size:           4
        .value_kind:     by_value
      - .address_space:  global
        .offset:         88
        .size:           8
        .value_kind:     global_buffer
      - .address_space:  global
        .offset:         96
        .size:           8
        .value_kind:     global_buffer
    .group_segment_fixed_size: 11232
    .kernarg_segment_align: 8
    .kernarg_segment_size: 104
    .language:       OpenCL C
    .language_version:
      - 2
      - 0
    .max_flat_workgroup_size: 117
    .name:           bluestein_single_back_len156_dim1_sp_op_CI_CI
    .private_segment_fixed_size: 0
    .sgpr_count:     52
    .sgpr_spill_count: 0
    .symbol:         bluestein_single_back_len156_dim1_sp_op_CI_CI.kd
    .uniform_work_group_size: 1
    .uses_dynamic_stack: false
    .vgpr_count:     218
    .vgpr_spill_count: 0
    .wavefront_size: 64
amdhsa.target:   amdgcn-amd-amdhsa--gfx950
amdhsa.version:
  - 1
  - 2
...

	.end_amdgpu_metadata
